;; amdgpu-corpus repo=ROCm/rocFFT kind=compiled arch=gfx1030 opt=O3
	.text
	.amdgcn_target "amdgcn-amd-amdhsa--gfx1030"
	.amdhsa_code_object_version 6
	.protected	bluestein_single_fwd_len2700_dim1_sp_op_CI_CI ; -- Begin function bluestein_single_fwd_len2700_dim1_sp_op_CI_CI
	.globl	bluestein_single_fwd_len2700_dim1_sp_op_CI_CI
	.p2align	8
	.type	bluestein_single_fwd_len2700_dim1_sp_op_CI_CI,@function
bluestein_single_fwd_len2700_dim1_sp_op_CI_CI: ; @bluestein_single_fwd_len2700_dim1_sp_op_CI_CI
; %bb.0:
	s_load_dwordx4 s[12:15], s[4:5], 0x28
	v_mul_u32_u24_e32 v1, 0x2d9, v0
	s_mov_b64 s[22:23], s[2:3]
	s_mov_b64 s[20:21], s[0:1]
	v_mov_b32_e32 v3, 0
	s_add_u32 s20, s20, s7
	v_lshrrev_b32_e32 v1, 16, v1
	s_addc_u32 s21, s21, 0
	s_mov_b32 s0, exec_lo
	v_add_nc_u32_e32 v2, s6, v1
	s_waitcnt lgkmcnt(0)
	v_cmpx_gt_u64_e64 s[12:13], v[2:3]
	s_cbranch_execz .LBB0_2
; %bb.1:
	s_clause 0x1
	s_load_dwordx4 s[0:3], s[4:5], 0x18
	s_load_dwordx4 s[8:11], s[4:5], 0x0
	v_mov_b32_e32 v4, v2
	v_mul_lo_u16 v1, 0x5a, v1
	v_mov_b32_e32 v206, 3
	v_mov_b32_e32 v194, 0x12c
	s_load_dwordx2 s[4:5], s[4:5], 0x38
	v_sub_nc_u16 v79, v0, v1
	v_and_b32_e32 v89, 0xffff, v79
	v_lshlrev_b32_e32 v229, 3, v89
	v_add_nc_u32_e32 v178, 0x168, v89
	s_waitcnt lgkmcnt(0)
	s_load_dwordx4 s[16:19], s[0:1], 0x0
	buffer_store_dword v4, off, s[20:23], 0 ; 4-byte Folded Spill
	buffer_store_dword v5, off, s[20:23], 0 offset:4 ; 4-byte Folded Spill
	v_add_co_u32 v192, null, 0x2d0, v89
	v_add_co_u32 v176, s0, s8, v229
	v_add_co_ci_u32_e64 v180, null, s9, 0, s0
	global_load_dwordx2 v[68:69], v229, s[8:9]
	v_add_co_u32 v8, vcc_lo, 0x1800, v176
	v_add_co_ci_u32_e32 v9, vcc_lo, 0, v180, vcc_lo
	v_add_co_u32 v10, vcc_lo, 0x3800, v176
	v_add_co_ci_u32_e32 v11, vcc_lo, 0, v180, vcc_lo
	global_load_dwordx2 v[56:57], v[8:9], off offset:1056
	v_add_nc_u32_e32 v189, 0x3800, v229
	v_add_nc_u32_e32 v197, 0x400, v229
	global_load_dwordx2 v[59:60], v[10:11], off offset:64
	s_waitcnt lgkmcnt(0)
	v_mad_u64_u32 v[0:1], null, s18, v2, 0
	v_mad_u64_u32 v[2:3], null, s16, v89, 0
	s_mul_i32 s0, s17, 0x1c20
	s_mul_hi_u32 s6, s16, 0x1c20
	s_mul_i32 s1, s16, 0x1c20
	s_add_i32 s0, s6, s0
	s_mul_hi_u32 s7, s16, 0xffffca90
	s_mul_i32 s12, s17, 0xffffca90
	s_mul_i32 s6, s16, 0xffffca90
	s_sub_i32 s7, s7, s16
	v_add_nc_u32_e32 v235, 0x2000, v229
	s_add_i32 s7, s7, s12
	v_add_nc_u32_e32 v233, 0x1000, v229
	v_add_nc_u32_e32 v199, 0x1800, v229
	;; [unrolled: 1-line block ×4, first 2 shown]
	v_mov_b32_e32 v211, v89
	v_mad_u64_u32 v[4:5], null, s19, v4, v[1:2]
	v_mad_u64_u32 v[5:6], null, s17, v89, v[3:4]
	v_mov_b32_e32 v1, v4
	v_lshlrev_b64 v[0:1], 3, v[0:1]
	v_mov_b32_e32 v3, v5
	s_waitcnt vmcnt(1)
	v_mov_b32_e32 v58, v57
	v_mov_b32_e32 v57, v56
	s_waitcnt vmcnt(0)
	v_mov_b32_e32 v61, v60
	v_lshlrev_b64 v[2:3], 3, v[2:3]
	v_add_co_u32 v0, vcc_lo, s14, v0
	v_add_co_ci_u32_e32 v1, vcc_lo, s15, v1, vcc_lo
	v_mov_b32_e32 v60, v59
	v_add_co_u32 v2, vcc_lo, v0, v2
	v_add_co_ci_u32_e32 v3, vcc_lo, v1, v3, vcc_lo
	global_load_dwordx2 v[0:1], v[2:3], off
	v_add_co_u32 v2, vcc_lo, v2, s1
	v_add_co_ci_u32_e32 v3, vcc_lo, s0, v3, vcc_lo
	v_add_co_u32 v6, vcc_lo, v2, s1
	v_add_co_ci_u32_e32 v7, vcc_lo, s0, v3, vcc_lo
	global_load_dwordx2 v[2:3], v[2:3], off
	v_add_co_u32 v12, vcc_lo, v6, s6
	global_load_dwordx2 v[4:5], v[6:7], off
	v_add_co_ci_u32_e32 v13, vcc_lo, s7, v7, vcc_lo
	v_add_co_u32 v18, vcc_lo, 0x2000, v176
	v_add_co_ci_u32_e32 v19, vcc_lo, 0, v180, vcc_lo
	v_add_co_u32 v14, vcc_lo, 0x800, v176
	;; [unrolled: 2-line block ×8, first 2 shown]
	v_add_co_ci_u32_e32 v238, vcc_lo, 0, v180, vcc_lo
	global_load_dwordx2 v[6:7], v[12:13], off
	s_clause 0x17
	global_load_dwordx2 v[64:65], v229, s[8:9] offset:720
	global_load_dwordx2 v[62:63], v229, s[8:9] offset:1440
	global_load_dwordx2 v[116:117], v[8:9], off offset:1776
	global_load_dwordx2 v[114:115], v[10:11], off offset:784
	;; [unrolled: 1-line block ×22, first 2 shown]
	v_add_co_u32 v10, vcc_lo, v12, s1
	v_add_co_ci_u32_e32 v11, vcc_lo, s0, v13, vcc_lo
	global_load_dwordx2 v[66:67], v[8:9], off offset:336
	v_add_co_u32 v8, vcc_lo, v10, s1
	v_add_co_ci_u32_e32 v9, vcc_lo, s0, v11, vcc_lo
	global_load_dwordx2 v[10:11], v[10:11], off
	v_add_co_u32 v12, vcc_lo, v8, s6
	v_add_co_ci_u32_e32 v13, vcc_lo, s7, v9, vcc_lo
	global_load_dwordx2 v[8:9], v[8:9], off
	;; [unrolled: 3-line block ×20, first 2 shown]
	buffer_store_dword v68, off, s[20:23], 0 offset:240 ; 4-byte Folded Spill
	buffer_store_dword v69, off, s[20:23], 0 offset:244 ; 4-byte Folded Spill
	;; [unrolled: 1-line block ×4, first 2 shown]
	v_add_co_u32 v52, vcc_lo, v50, s1
	v_add_co_ci_u32_e32 v53, vcc_lo, s0, v51, vcc_lo
	global_load_dwordx2 v[50:51], v[50:51], off
	buffer_store_dword v60, off, s[20:23], 0 offset:176 ; 4-byte Folded Spill
	buffer_store_dword v61, off, s[20:23], 0 offset:180 ; 4-byte Folded Spill
	s_waitcnt vmcnt(49)
	v_mul_f32_e32 v55, v0, v69
	v_mul_f32_e32 v54, v1, v69
	s_waitcnt vmcnt(48)
	v_mul_f32_e32 v56, v2, v58
	v_fma_f32 v55, v1, v68, -v55
	v_mul_f32_e32 v1, v3, v58
	v_add_co_u32 v58, vcc_lo, v52, s1
	v_add_co_ci_u32_e32 v59, vcc_lo, s0, v53, vcc_lo
	global_load_dwordx2 v[52:53], v[52:53], off
	s_waitcnt vmcnt(46)
	buffer_store_dword v64, off, s[20:23], 0 offset:232 ; 4-byte Folded Spill
	buffer_store_dword v65, off, s[20:23], 0 offset:236 ; 4-byte Folded Spill
	v_fmac_f32_e32 v54, v0, v68
	v_mul_f32_e32 v0, v4, v61
	v_fmac_f32_e32 v1, v2, v57
	v_fma_f32 v2, v3, v57, -v56
	v_mul_f32_e32 v56, v5, v61
	v_add_nc_u32_e32 v61, 0x2800, v229
	v_fma_f32 v57, v5, v60, -v0
	ds_write_b64 v229, v[1:2] offset:7200
	v_add_co_u32 v2, vcc_lo, v58, s6
	v_fmac_f32_e32 v56, v4, v60
	v_add_co_ci_u32_e32 v3, vcc_lo, s7, v59, vcc_lo
	global_load_dwordx2 v[4:5], v[58:59], off
	ds_write_b64 v229, v[56:57] offset:14400
	v_mul_f32_e32 v0, v7, v65
	v_mul_f32_e32 v60, v6, v65
	v_fmac_f32_e32 v0, v6, v64
	v_add_co_u32 v6, vcc_lo, v2, s1
	v_fma_f32 v1, v7, v64, -v60
	v_add_co_ci_u32_e32 v7, vcc_lo, s0, v3, vcc_lo
	v_add_co_u32 v56, vcc_lo, v6, s1
	global_load_dwordx2 v[2:3], v[2:3], off
	v_add_co_ci_u32_e32 v57, vcc_lo, s0, v7, vcc_lo
	global_load_dwordx2 v[58:59], v[26:27], off offset:1392
	global_load_dwordx2 v[6:7], v[6:7], off
	ds_write2_b64 v229, v[54:55], v[0:1] offset1:90
	global_load_dwordx2 v[54:55], v[237:238], off offset:400
	global_load_dwordx2 v[0:1], v[56:57], off
	s_waitcnt vmcnt(50)
	buffer_store_dword v116, off, s[20:23], 0 offset:224 ; 4-byte Folded Spill
	buffer_store_dword v117, off, s[20:23], 0 offset:228 ; 4-byte Folded Spill
	s_waitcnt vmcnt(47)
	buffer_store_dword v110, off, s[20:23], 0 offset:168 ; 4-byte Folded Spill
	buffer_store_dword v111, off, s[20:23], 0 offset:172 ; 4-byte Folded Spill
	;; [unrolled: 1-line block ×4, first 2 shown]
	v_add_nc_u32_e32 v56, 0x1c00, v229
	buffer_store_dword v62, off, s[20:23], 0 offset:184 ; 4-byte Folded Spill
	buffer_store_dword v63, off, s[20:23], 0 offset:188 ; 4-byte Folded Spill
	v_mov_b32_e32 v230, v56
	s_waitcnt vmcnt(27)
	v_mul_f32_e32 v27, v10, v117
	v_mul_f32_e32 v26, v11, v117
	v_fma_f32 v27, v11, v116, -v27
	s_waitcnt vmcnt(24)
	v_mul_f32_e32 v11, v14, v111
	v_fmac_f32_e32 v26, v10, v116
	v_mul_f32_e32 v10, v15, v111
	v_fma_f32 v11, v15, v110, -v11
	v_mul_f32_e32 v15, v8, v115
	v_fmac_f32_e32 v10, v14, v110
	v_mul_f32_e32 v14, v9, v115
	v_fma_f32 v15, v9, v114, -v15
	ds_write2_b64 v56, v[26:27], v[10:11] offset0:94 offset1:184
	buffer_store_dword v106, off, s[20:23], 0 offset:160 ; 4-byte Folded Spill
	buffer_store_dword v107, off, s[20:23], 0 offset:164 ; 4-byte Folded Spill
	;; [unrolled: 1-line block ×4, first 2 shown]
	v_fmac_f32_e32 v14, v8, v114
	v_mul_f32_e32 v9, v12, v63
	v_mul_f32_e32 v8, v13, v63
	v_add_nc_u32_e32 v27, 0x4400, v229
	v_add_nc_u32_e32 v56, 0x2c00, v229
	v_mov_b32_e32 v26, v61
	v_fma_f32 v9, v13, v62, -v9
	v_fmac_f32_e32 v8, v12, v62
	v_mov_b32_e32 v228, v26
	s_waitcnt vmcnt(23)
	v_mul_f32_e32 v11, v16, v107
	v_mul_f32_e32 v10, v17, v107
	s_waitcnt vmcnt(22)
	v_mul_f32_e32 v13, v18, v113
	v_mul_f32_e32 v12, v19, v113
	v_fma_f32 v11, v17, v106, -v11
	v_fmac_f32_e32 v10, v16, v106
	v_fma_f32 v13, v19, v112, -v13
	v_fmac_f32_e32 v12, v18, v112
	v_add_nc_u32_e32 v19, 0x4000, v229
	v_add_nc_u32_e32 v18, 0x800, v229
	ds_write2_b64 v189, v[14:15], v[10:11] offset0:98 offset1:188
	buffer_store_dword v108, off, s[20:23], 0 offset:200 ; 4-byte Folded Spill
	buffer_store_dword v109, off, s[20:23], 0 offset:204 ; 4-byte Folded Spill
	ds_write2_b64 v197, v[8:9], v[12:13] offset0:52 offset1:142
	buffer_store_dword v104, off, s[20:23], 0 offset:152 ; 4-byte Folded Spill
	buffer_store_dword v105, off, s[20:23], 0 offset:156 ; 4-byte Folded Spill
	;; [unrolled: 1-line block ×6, first 2 shown]
	s_load_dwordx4 s[0:3], s[2:3], 0x0
	buffer_store_dword v96, off, s[20:23], 0 offset:104 ; 4-byte Folded Spill
	buffer_store_dword v97, off, s[20:23], 0 offset:108 ; 4-byte Folded Spill
	v_mov_b32_e32 v234, v18
	v_mov_b32_e32 v255, v234
	s_waitcnt vmcnt(21)
	v_mul_f32_e32 v10, v20, v109
	v_mul_f32_e32 v8, v21, v109
	s_waitcnt vmcnt(20)
	v_mul_f32_e32 v11, v22, v105
	s_waitcnt vmcnt(18)
	v_mul_f32_e32 v13, v28, v99
	v_mul_f32_e32 v12, v29, v99
	v_fma_f32 v9, v21, v108, -v10
	v_fmac_f32_e32 v8, v20, v108
	v_mul_f32_e32 v10, v23, v105
	v_fma_f32 v13, v29, v98, -v13
	v_fmac_f32_e32 v12, v28, v98
	v_mul_f32_e32 v15, v24, v103
	v_mul_f32_e32 v14, v25, v103
	s_waitcnt vmcnt(17)
	v_mul_f32_e32 v16, v31, v97
	v_mul_f32_e32 v17, v30, v97
	ds_write2_b64 v235, v[8:9], v[12:13] offset0:146 offset1:236
	buffer_store_dword v100, off, s[20:23], 0 offset:144 ; 4-byte Folded Spill
	buffer_store_dword v101, off, s[20:23], 0 offset:148 ; 4-byte Folded Spill
	v_fma_f32 v11, v23, v104, -v11
	v_fmac_f32_e32 v10, v22, v104
	v_fma_f32 v15, v25, v102, -v15
	v_fmac_f32_e32 v14, v24, v102
	v_fmac_f32_e32 v16, v30, v96
	v_fma_f32 v17, v31, v96, -v17
	buffer_store_dword v94, off, s[20:23], 0 offset:112 ; 4-byte Folded Spill
	buffer_store_dword v95, off, s[20:23], 0 offset:116 ; 4-byte Folded Spill
	v_mov_b32_e32 v24, v19
	v_add_nc_u32_e32 v22, 0x1400, v229
	v_add_nc_u32_e32 v28, 0x4800, v229
	ds_write2_b64 v19, v[10:11], v[16:17] offset0:22 offset1:112
	buffer_store_dword v92, off, s[20:23], 0 offset:120 ; 4-byte Folded Spill
	buffer_store_dword v93, off, s[20:23], 0 offset:124 ; 4-byte Folded Spill
	v_mov_b32_e32 v226, v24
	v_mov_b32_e32 v223, v22
	;; [unrolled: 1-line block ×4, first 2 shown]
	s_waitcnt vmcnt(16)
	v_mul_f32_e32 v8, v33, v101
	v_mul_f32_e32 v9, v32, v101
	v_fmac_f32_e32 v8, v32, v100
	v_fma_f32 v9, v33, v100, -v9
	s_waitcnt vmcnt(15)
	v_mul_f32_e32 v12, v35, v95
	v_mul_f32_e32 v13, v34, v95
	ds_write2_b64 v18, v[14:15], v[8:9] offset0:104 offset1:194
	buffer_store_dword v90, off, s[20:23], 0 offset:96 ; 4-byte Folded Spill
	buffer_store_dword v91, off, s[20:23], 0 offset:100 ; 4-byte Folded Spill
	;; [unrolled: 1-line block ×8, first 2 shown]
	s_waitcnt vmcnt(14)
	v_mul_f32_e32 v10, v37, v93
	v_mul_f32_e32 v9, v36, v93
	v_fmac_f32_e32 v12, v34, v94
	v_fma_f32 v13, v35, v94, -v13
	v_fmac_f32_e32 v10, v36, v92
	v_fma_f32 v11, v37, v92, -v9
	s_waitcnt vmcnt(13)
	v_mul_f32_e32 v15, v38, v91
	v_mul_f32_e32 v8, v39, v91
	s_waitcnt vmcnt(12)
	v_mul_f32_e32 v14, v41, v87
	v_mul_f32_e32 v17, v40, v87
	;; [unrolled: 3-line block ×4, first 2 shown]
	v_fma_f32 v9, v39, v90, -v15
	v_fmac_f32_e32 v8, v38, v90
	v_fmac_f32_e32 v14, v40, v86
	v_fma_f32 v15, v41, v86, -v17
	v_fma_f32 v17, v43, v84, -v19
	v_fmac_f32_e32 v16, v42, v84
	v_fma_f32 v19, v45, v82, -v20
	v_fmac_f32_e32 v18, v44, v82
	ds_write2_b64 v61, v[12:13], v[14:15] offset0:70 offset1:160
	buffer_store_dword v76, off, s[20:23], 0 offset:64 ; 4-byte Folded Spill
	buffer_store_dword v77, off, s[20:23], 0 offset:68 ; 4-byte Folded Spill
	ds_write2_b64 v27, v[10:11], v[16:17] offset0:74 offset1:164
	buffer_store_dword v80, off, s[20:23], 0 offset:56 ; 4-byte Folded Spill
	buffer_store_dword v81, off, s[20:23], 0 offset:60 ; 4-byte Folded Spill
	;; [unrolled: 3-line block ×3, first 2 shown]
	buffer_store_dword v70, off, s[20:23], 0 offset:40 ; 4-byte Folded Spill
	buffer_store_dword v71, off, s[20:23], 0 offset:44 ; 4-byte Folded Spill
	;; [unrolled: 1-line block ×6, first 2 shown]
	s_waitcnt vmcnt(3)
	buffer_store_dword v58, off, s[20:23], 0 offset:16 ; 4-byte Folded Spill
	buffer_store_dword v59, off, s[20:23], 0 offset:20 ; 4-byte Folded Spill
	s_waitcnt vmcnt(1)
	buffer_store_dword v54, off, s[20:23], 0 offset:8 ; 4-byte Folded Spill
	buffer_store_dword v55, off, s[20:23], 0 offset:12 ; 4-byte Folded Spill
	v_mul_f32_e32 v12, v46, v77
	v_mul_f32_e32 v10, v47, v77
	;; [unrolled: 1-line block ×4, first 2 shown]
	v_fma_f32 v11, v47, v76, -v12
	v_mul_f32_e32 v17, v4, v73
	v_mul_f32_e32 v16, v5, v73
	;; [unrolled: 1-line block ×3, first 2 shown]
	v_fma_f32 v9, v49, v80, -v13
	v_mul_f32_e32 v13, v50, v75
	v_mul_f32_e32 v12, v51, v75
	;; [unrolled: 1-line block ×4, first 2 shown]
	v_fma_f32 v17, v5, v72, -v17
	v_fmac_f32_e32 v16, v4, v72
	v_mul_f32_e32 v4, v3, v67
	v_fma_f32 v5, v3, v66, -v18
	v_mul_f32_e32 v3, v6, v59
	v_mul_f32_e32 v18, v7, v59
	s_waitcnt vmcnt(0)
	v_mul_f32_e32 v21, v0, v55
	v_mul_f32_e32 v20, v1, v55
	v_fmac_f32_e32 v10, v46, v76
	v_fma_f32 v13, v51, v74, -v13
	v_fmac_f32_e32 v12, v50, v74
	v_fma_f32 v15, v53, v70, -v15
	v_fmac_f32_e32 v14, v52, v70
	v_fmac_f32_e32 v4, v2, v66
	v_fma_f32 v19, v7, v58, -v3
	v_fmac_f32_e32 v18, v6, v58
	;; [unrolled: 3-line block ×3, first 2 shown]
	ds_write2_b64 v56, v[10:11], v[14:15] offset0:122 offset1:212
	ds_write2_b64 v28, v[8:9], v[16:17] offset0:126 offset1:216
	;; [unrolled: 1-line block ×3, first 2 shown]
	ds_write_b64 v229, v[18:19] offset:13680
	ds_write_b64 v229, v[20:21] offset:20880
	s_waitcnt lgkmcnt(0)
	s_waitcnt_vscnt null, 0x0
	s_barrier
	buffer_gl0_inv
	ds_read2_b64 v[61:64], v229 offset1:90
	ds_read2_b64 v[4:7], v199 offset0:132 offset1:222
	ds_read2_b64 v[8:11], v189 offset0:8 offset1:98
	;; [unrolled: 1-line block ×5, first 2 shown]
	s_waitcnt lgkmcnt(4)
	v_add_f32_e32 v20, v61, v4
	s_waitcnt lgkmcnt(3)
	v_add_f32_e32 v50, v4, v8
	v_sub_f32_e32 v75, v4, v8
	v_add_f32_e32 v4, v63, v6
	v_sub_f32_e32 v73, v5, v9
	v_add_f32_e32 v21, v62, v5
	v_add_f32_e32 v74, v5, v9
	;; [unrolled: 1-line block ×3, first 2 shown]
	v_sub_f32_e32 v77, v7, v11
	v_add_f32_e32 v5, v64, v7
	v_add_f32_e32 v78, v7, v11
	v_sub_f32_e32 v80, v6, v10
	s_waitcnt lgkmcnt(1)
	v_add_f32_e32 v6, v0, v12
	s_waitcnt lgkmcnt(0)
	v_add_f32_e32 v81, v12, v16
	v_add_f32_e32 v7, v1, v13
	v_sub_f32_e32 v84, v12, v16
	v_add_f32_e32 v12, v2, v14
	v_add_f32_e32 v69, v4, v10
	;; [unrolled: 1-line block ×3, first 2 shown]
	v_sub_f32_e32 v82, v13, v17
	v_add_f32_e32 v83, v13, v17
	v_add_f32_e32 v48, v20, v8
	;; [unrolled: 1-line block ×5, first 2 shown]
	v_sub_f32_e32 v34, v15, v19
	v_add_f32_e32 v86, v15, v19
	v_sub_f32_e32 v35, v14, v18
	v_add_f32_e32 v71, v6, v16
	v_add_f32_e32 v72, v7, v17
	;; [unrolled: 1-line block ×4, first 2 shown]
	ds_read2_b64 v[4:7], v234 offset0:104 offset1:194
	ds_read2_b64 v[8:11], v179 offset0:108 offset1:198
	;; [unrolled: 1-line block ×3, first 2 shown]
	v_fma_f32 v63, -0.5, v76, v63
	v_fmac_f32_e32 v64, -0.5, v78
	v_fma_f32 v0, -0.5, v81, v0
	v_fma_f32 v1, -0.5, v83, v1
	;; [unrolled: 1-line block ×3, first 2 shown]
	v_fmac_f32_e32 v3, -0.5, v86
	v_add_nc_u32_e32 v78, 0x1c2, v89
	v_mov_b32_e32 v76, 30
	s_waitcnt lgkmcnt(1)
	v_add_f32_e32 v18, v4, v8
	s_waitcnt lgkmcnt(0)
	v_add_f32_e32 v40, v8, v12
	v_sub_f32_e32 v36, v9, v13
	v_add_f32_e32 v19, v5, v9
	v_add_f32_e32 v41, v9, v13
	v_sub_f32_e32 v37, v8, v12
	v_add_f32_e32 v8, v6, v10
	v_add_f32_e32 v9, v7, v11
	;; [unrolled: 1-line block ×3, first 2 shown]
	v_sub_f32_e32 v32, v11, v15
	v_add_f32_e32 v39, v11, v15
	v_sub_f32_e32 v33, v10, v14
	v_add_f32_e32 v24, v18, v12
	v_add_f32_e32 v25, v19, v13
	;; [unrolled: 1-line block ×4, first 2 shown]
	ds_read2_b64 v[12:15], v233 offset0:28 offset1:118
	ds_read2_b64 v[8:11], v26 offset0:160 offset1:250
	;; [unrolled: 1-line block ×3, first 2 shown]
	v_fma_f32 v6, -0.5, v38, v6
	v_fmac_f32_e32 v7, -0.5, v39
	s_waitcnt lgkmcnt(1)
	v_add_f32_e32 v19, v13, v9
	v_add_f32_e32 v18, v12, v8
	s_waitcnt lgkmcnt(0)
	v_add_f32_e32 v57, v8, v26
	v_sub_f32_e32 v51, v9, v27
	v_add_f32_e32 v58, v9, v27
	v_sub_f32_e32 v52, v8, v26
	v_add_f32_e32 v8, v14, v10
	v_add_f32_e32 v9, v15, v11
	;; [unrolled: 1-line block ×3, first 2 shown]
	v_add_nc_u32_e32 v19, 0x4c00, v229
	v_add_f32_e32 v26, v18, v26
	v_add_nc_u32_e32 v18, 0x3000, v229
	v_add_f32_e32 v53, v10, v28
	v_sub_f32_e32 v43, v11, v29
	v_add_f32_e32 v55, v11, v29
	v_sub_f32_e32 v46, v10, v28
	v_add_f32_e32 v22, v8, v28
	v_add_f32_e32 v23, v9, v29
	ds_read2_b64 v[8:11], v223 offset0:80 offset1:170
	ds_read2_b64 v[28:31], v18 offset0:84 offset1:174
	;; [unrolled: 1-line block ×3, first 2 shown]
	v_fma_f32 v14, -0.5, v53, v14
	v_fmac_f32_e32 v15, -0.5, v55
	v_mov_b32_e32 v227, v18
	v_mov_b32_e32 v91, v19
	;; [unrolled: 1-line block ×4, first 2 shown]
	s_waitcnt lgkmcnt(1)
	v_add_f32_e32 v87, v10, v30
	s_waitcnt lgkmcnt(0)
	v_add_f32_e32 v54, v30, v67
	v_sub_f32_e32 v42, v31, v68
	v_add_f32_e32 v88, v11, v31
	v_add_f32_e32 v56, v31, v68
	v_sub_f32_e32 v45, v30, v67
	v_fma_f32 v30, -0.5, v50, v61
	v_fma_f32 v31, -0.5, v74, v62
	v_mul_lo_u16 v50, v79, 3
	v_add_f32_e32 v59, v28, v65
	v_add_f32_e32 v60, v29, v66
	v_fmamk_f32 v61, v73, 0x3f5db3d7, v30
	v_fmamk_f32 v62, v75, 0xbf5db3d7, v31
	v_lshlrev_b32_sdwa v50, v206, v50 dst_sel:DWORD dst_unused:UNUSED_PAD src0_sel:DWORD src1_sel:WORD_0
	v_fmac_f32_e32 v30, 0xbf5db3d7, v73
	v_fmac_f32_e32 v31, 0x3f5db3d7, v75
	v_add_f32_e32 v18, v8, v28
	v_sub_f32_e32 v47, v29, v66
	buffer_store_dword v50, off, s[20:23], 0 offset:252 ; 4-byte Folded Spill
	s_waitcnt_vscnt null, 0x0
	s_barrier
	buffer_gl0_inv
	ds_write2_b64 v50, v[48:49], v[61:62] offset1:1
	v_add_co_u32 v61, null, 0x5a, v89
	ds_write_b64 v50, v[30:31] offset:16
	v_fmamk_f32 v48, v77, 0x3f5db3d7, v63
	v_fmamk_f32 v49, v80, 0xbf5db3d7, v64
	v_mul_u32_u24_e32 v30, 3, v61
	v_fmac_f32_e32 v63, 0xbf5db3d7, v77
	v_fmac_f32_e32 v64, 0x3f5db3d7, v80
	v_add_co_u32 v50, null, 0xb4, v89
	v_lshlrev_b32_e32 v30, 3, v30
	v_add_co_u32 v77, s6, 0x10e, v89
	v_add_f32_e32 v19, v9, v29
	v_sub_f32_e32 v44, v28, v65
	buffer_store_dword v30, off, s[20:23], 0 offset:256 ; 4-byte Folded Spill
	ds_write2_b64 v30, v[69:70], v[48:49] offset1:1
	ds_write_b64 v30, v[63:64] offset:16
	v_mul_u32_u24_e32 v30, 3, v50
	v_fmamk_f32 v48, v82, 0x3f5db3d7, v0
	v_fmamk_f32 v49, v84, 0xbf5db3d7, v1
	v_fmac_f32_e32 v0, 0xbf5db3d7, v82
	v_fmac_f32_e32 v1, 0x3f5db3d7, v84
	v_lshlrev_b32_e32 v30, 3, v30
	v_add_co_u32 v64, null, 0x21c, v89
	v_add_f32_e32 v28, v18, v65
	v_add_f32_e32 v29, v19, v66
	ds_write_b64 v30, v[0:1] offset:16
	v_mul_u32_u24_e32 v0, 3, v77
	buffer_store_dword v30, off, s[20:23], 0 offset:260 ; 4-byte Folded Spill
	ds_write2_b64 v30, v[71:72], v[48:49] offset1:1
	v_fmamk_f32 v1, v35, 0xbf5db3d7, v3
	v_fmac_f32_e32 v3, 0x3f5db3d7, v35
	v_lshlrev_b32_e32 v30, 3, v0
	v_fmamk_f32 v0, v34, 0x3f5db3d7, v2
	v_fmac_f32_e32 v2, 0xbf5db3d7, v34
	v_fma_f32 v10, -0.5, v54, v10
	v_fmac_f32_e32 v11, -0.5, v56
	v_add_f32_e32 v18, v87, v67
	ds_write2_b64 v30, v[16:17], v[0:1] offset1:1
	ds_write_b64 v30, v[2:3] offset:16
	v_fma_f32 v0, -0.5, v40, v4
	v_fma_f32 v1, -0.5, v41, v5
	v_mul_u32_u24_e32 v2, 3, v178
	v_add_f32_e32 v19, v88, v68
	buffer_store_dword v30, off, s[20:23], 0 offset:472 ; 4-byte Folded Spill
	v_add_co_ci_u32_e64 v63, null, 0, 0, s6
	v_lshlrev_b32_e32 v4, 3, v2
	v_fmamk_f32 v2, v36, 0x3f5db3d7, v0
	v_fmamk_f32 v3, v37, 0xbf5db3d7, v1
	v_fmac_f32_e32 v0, 0xbf5db3d7, v36
	v_fmac_f32_e32 v1, 0x3f5db3d7, v37
	buffer_store_dword v4, off, s[20:23], 0 offset:468 ; 4-byte Folded Spill
	ds_write2_b64 v4, v[24:25], v[2:3] offset1:1
	ds_write_b64 v4, v[0:1] offset:16
	v_mul_u32_u24_e32 v0, 3, v78
	v_fmamk_f32 v1, v33, 0xbf5db3d7, v7
	v_fmac_f32_e32 v7, 0x3f5db3d7, v33
	v_lshlrev_b32_e32 v2, 3, v0
	v_fmamk_f32 v0, v32, 0x3f5db3d7, v6
	v_fmac_f32_e32 v6, 0xbf5db3d7, v32
	buffer_store_dword v2, off, s[20:23], 0 offset:464 ; 4-byte Folded Spill
	ds_write2_b64 v2, v[20:21], v[0:1] offset1:1
	ds_write_b64 v2, v[6:7] offset:16
	v_fma_f32 v0, -0.5, v57, v12
	v_fma_f32 v1, -0.5, v58, v13
	v_mul_u32_u24_e32 v2, 3, v64
	v_add_co_u32 v58, null, 0x276, v89
	v_fmamk_f32 v3, v52, 0xbf5db3d7, v1
	v_lshlrev_b32_e32 v4, 3, v2
	v_fmamk_f32 v2, v51, 0x3f5db3d7, v0
	v_fmac_f32_e32 v0, 0xbf5db3d7, v51
	v_fmac_f32_e32 v1, 0x3f5db3d7, v52
	buffer_store_dword v4, off, s[20:23], 0 offset:460 ; 4-byte Folded Spill
	ds_write2_b64 v4, v[26:27], v[2:3] offset1:1
	v_mul_u32_u24_e32 v2, 3, v58
	ds_write_b64 v4, v[0:1] offset:16
	v_fmamk_f32 v0, v43, 0x3f5db3d7, v14
	v_fmamk_f32 v1, v46, 0xbf5db3d7, v15
	v_fmac_f32_e32 v14, 0xbf5db3d7, v43
	v_lshlrev_b32_e32 v2, 3, v2
	v_fmac_f32_e32 v15, 0x3f5db3d7, v46
	buffer_store_dword v2, off, s[20:23], 0 offset:456 ; 4-byte Folded Spill
	ds_write2_b64 v2, v[22:23], v[0:1] offset1:1
	ds_write_b64 v2, v[14:15] offset:16
	v_fma_f32 v1, -0.5, v59, v8
	v_fma_f32 v2, -0.5, v60, v9
	v_mul_u32_u24_e32 v0, 3, v192
	v_fmamk_f32 v3, v47, 0x3f5db3d7, v1
	v_fmamk_f32 v4, v44, 0xbf5db3d7, v2
	v_lshlrev_b32_e32 v5, 3, v0
	v_and_b32_e32 v0, 0xff, v79
	v_fmac_f32_e32 v1, 0xbf5db3d7, v47
	v_fmac_f32_e32 v2, 0x3f5db3d7, v44
	ds_write2_b64 v5, v[28:29], v[3:4] offset1:1
	v_mul_lo_u16 v3, 0xab, v0
	v_mov_b32_e32 v8, v5
	v_add_co_u32 v28, null, 0x32a, v89
	v_fmamk_f32 v4, v45, 0xbf5db3d7, v11
	v_lshrrev_b16 v12, 9, v3
	v_fmac_f32_e32 v11, 0x3f5db3d7, v45
	v_mul_u32_u24_e32 v6, 3, v28
	buffer_store_dword v8, off, s[20:23], 0 offset:476 ; 4-byte Folded Spill
	ds_write_b64 v8, v[1:2] offset:16
	v_mul_lo_u16 v3, v12, 3
	v_and_b32_e32 v1, 0xff, v61
	v_mul_lo_u16 v0, 0x89, v0
	v_sub_nc_u16 v5, v79, v3
	v_fmamk_f32 v3, v42, 0x3f5db3d7, v10
	v_fmac_f32_e32 v10, 0xbf5db3d7, v42
	v_mul_lo_u16 v8, 0xab, v1
	v_mul_lo_u16 v1, 0x89, v1
	v_and_b32_e32 v13, 0xff, v5
	v_lshlrev_b32_e32 v5, 3, v6
	v_lshrrev_b16 v14, 9, v8
	v_mad_u64_u32 v[6:7], null, 0x48, v13, s[10:11]
	buffer_store_dword v5, off, s[20:23], 0 offset:452 ; 4-byte Folded Spill
	ds_write2_b64 v5, v[18:19], v[3:4] offset1:1
	ds_write_b64 v5, v[10:11] offset:16
	s_waitcnt lgkmcnt(0)
	s_waitcnt_vscnt null, 0x0
	s_barrier
	buffer_gl0_inv
	ds_read2_b64 v[2:5], v233 offset0:28 offset1:118
	s_clause 0x1
	global_load_dwordx4 v[128:131], v[6:7], off
	global_load_dwordx4 v[136:139], v[6:7], off offset:16
	v_mul_lo_u16 v8, v14, 3
	v_sub_nc_u16 v8, v61, v8
	v_and_b32_e32 v15, 0xff, v8
	s_waitcnt vmcnt(1) lgkmcnt(0)
	v_mul_f32_e32 v8, v3, v131
	v_mul_f32_e32 v17, v2, v131
	v_fma_f32 v16, v2, v130, -v8
	v_mad_u64_u32 v[8:9], null, 0x48, v15, s[10:11]
	s_clause 0x1
	global_load_dwordx2 v[68:69], v[6:7], off offset:64
	global_load_dwordx4 v[132:135], v[8:9], off
	v_fmac_f32_e32 v17, v3, v130
	s_waitcnt vmcnt(0)
	v_mul_f32_e32 v2, v5, v135
	v_mul_f32_e32 v19, v4, v135
	v_fma_f32 v18, v4, v134, -v2
	v_fmac_f32_e32 v19, v5, v134
	ds_read2_b64 v[2:5], v235 offset0:56 offset1:146
	s_clause 0x3
	global_load_dwordx4 v[140:143], v[8:9], off offset:16
	global_load_dwordx4 v[152:155], v[8:9], off offset:32
	;; [unrolled: 1-line block ×4, first 2 shown]
	s_waitcnt lgkmcnt(0)
	v_mul_f32_e32 v10, v3, v139
	v_mul_f32_e32 v21, v2, v139
	v_fma_f32 v20, v2, v138, -v10
	v_fmac_f32_e32 v21, v3, v138
	s_waitcnt vmcnt(3)
	v_mul_f32_e32 v2, v5, v143
	v_mul_f32_e32 v23, v4, v143
	v_fma_f32 v22, v4, v142, -v2
	v_fmac_f32_e32 v23, v5, v142
	ds_read2_b64 v[2:5], v227 offset0:84 offset1:174
	s_waitcnt vmcnt(1) lgkmcnt(0)
	v_mul_f32_e32 v6, v3, v147
	v_mul_f32_e32 v25, v2, v147
	;; [unrolled: 1-line block ×3, first 2 shown]
	v_fma_f32 v24, v2, v146, -v6
	v_mul_f32_e32 v2, v5, v155
	v_fmac_f32_e32 v25, v3, v146
	v_fmac_f32_e32 v27, v5, v154
	v_sub_f32_e32 v99, v20, v24
	v_fma_f32 v26, v4, v154, -v2
	ds_read2_b64 v[2:5], v226 offset0:112 offset1:202
	s_clause 0x1
	global_load_dwordx2 v[243:244], v[8:9], off offset:64
	global_load_dwordx4 v[164:167], v[8:9], off offset:48
	v_mov_b32_e32 v9, v68
	v_mov_b32_e32 v10, v69
	v_add_f32_e32 v93, v21, v25
	v_sub_f32_e32 v96, v21, v25
	s_waitcnt vmcnt(2) lgkmcnt(0)
	v_mul_f32_e32 v6, v3, v159
	v_mul_f32_e32 v30, v2, v159
	v_fma_f32 v29, v2, v158, -v6
	v_fmac_f32_e32 v30, v3, v158
	v_sub_f32_e32 v98, v16, v29
	v_sub_f32_e32 v95, v17, v30
	s_waitcnt vmcnt(0)
	v_mul_f32_e32 v2, v5, v167
	v_mul_f32_e32 v32, v4, v167
	v_fma_f32 v31, v4, v166, -v2
	v_mov_b32_e32 v2, 0xaaab
	v_fmac_f32_e32 v32, v5, v166
	v_mul_u32_u24_sdwa v2, v50, v2 dst_sel:DWORD dst_unused:UNUSED_PAD src0_sel:WORD_0 src1_sel:DWORD
	v_lshrrev_b32_e32 v33, 17, v2
	v_mul_lo_u16 v2, v33, 3
	v_sub_nc_u16 v34, v50, v2
	v_mul_lo_u16 v2, 0x48, v34
	v_and_b32_e32 v2, 0xffff, v2
	v_add_co_u32 v6, s6, s10, v2
	v_add_co_ci_u32_e64 v7, null, s11, 0, s6
	ds_read2_b64 v[2:5], v234 offset0:104 offset1:194
	s_clause 0x1
	global_load_dwordx4 v[148:151], v[6:7], off
	global_load_dwordx4 v[160:163], v[6:7], off offset:16
	s_waitcnt lgkmcnt(0)
	v_mul_f32_e32 v8, v3, v133
	v_mul_f32_e32 v36, v2, v133
	v_fma_f32 v35, v2, v132, -v8
	v_fmac_f32_e32 v36, v3, v132
	s_waitcnt vmcnt(1)
	v_mul_f32_e32 v2, v5, v149
	v_mul_f32_e32 v38, v4, v149
	v_fma_f32 v37, v4, v148, -v2
	v_fmac_f32_e32 v38, v5, v148
	ds_read2_b64 v[2:5], v223 offset0:80 offset1:170
	s_waitcnt lgkmcnt(0)
	v_mul_f32_e32 v8, v5, v137
	v_mul_f32_e32 v40, v4, v137
	v_mul_f32_e32 v42, v2, v151
	v_fma_f32 v39, v4, v136, -v8
	v_mul_f32_e32 v4, v3, v151
	v_fmac_f32_e32 v40, v5, v136
	v_fmac_f32_e32 v42, v3, v150
	v_fma_f32 v41, v2, v150, -v4
	ds_read2_b64 v[2:5], v199 offset0:132 offset1:222
	s_waitcnt lgkmcnt(0)
	v_mul_f32_e32 v8, v3, v141
	v_mul_f32_e32 v44, v2, v141
	s_waitcnt vmcnt(0)
	v_mul_f32_e32 v46, v4, v161
	v_fma_f32 v43, v2, v140, -v8
	v_mul_f32_e32 v2, v5, v161
	v_fmac_f32_e32 v44, v3, v140
	v_fmac_f32_e32 v46, v5, v160
	v_fma_f32 v45, v4, v160, -v2
	ds_read2_b64 v[2:5], v179 offset0:108 offset1:198
	s_waitcnt lgkmcnt(0)
	v_mul_f32_e32 v8, v5, v145
	v_mul_f32_e32 v48, v4, v145
	;; [unrolled: 1-line block ×3, first 2 shown]
	v_fma_f32 v47, v4, v144, -v8
	v_mul_f32_e32 v4, v3, v163
	v_fmac_f32_e32 v48, v5, v144
	v_fmac_f32_e32 v51, v3, v162
	v_fma_f32 v49, v2, v162, -v4
	ds_read2_b64 v[2:5], v228 offset0:160 offset1:250
	s_clause 0x1
	global_load_dwordx4 v[168:171], v[6:7], off offset:32
	global_load_dwordx4 v[172:175], v[6:7], off offset:48
	s_waitcnt lgkmcnt(0)
	v_mul_f32_e32 v8, v3, v153
	v_mul_f32_e32 v53, v2, v153
	v_fma_f32 v52, v2, v152, -v8
	v_fmac_f32_e32 v53, v3, v152
	s_waitcnt vmcnt(1)
	v_mul_f32_e32 v2, v5, v169
	v_mul_f32_e32 v55, v4, v169
	v_fma_f32 v54, v4, v168, -v2
	v_fmac_f32_e32 v55, v5, v168
	ds_read2_b64 v[2:5], v189 offset0:8 offset1:98
	s_waitcnt lgkmcnt(0)
	v_mul_f32_e32 v8, v5, v157
	v_mul_f32_e32 v57, v4, v157
	;; [unrolled: 1-line block ×3, first 2 shown]
	v_fma_f32 v56, v4, v156, -v8
	v_mul_f32_e32 v4, v3, v171
	v_fmac_f32_e32 v57, v5, v156
	v_fmac_f32_e32 v60, v3, v170
	v_sub_f32_e32 v87, v47, v56
	v_fma_f32 v59, v2, v170, -v4
	ds_read2_b64 v[2:5], v232 offset0:60 offset1:150
	v_sub_f32_e32 v89, v48, v57
	s_waitcnt lgkmcnt(0)
	v_mul_f32_e32 v8, v3, v165
	v_mul_f32_e32 v65, v2, v165
	s_waitcnt vmcnt(0)
	v_mul_f32_e32 v67, v4, v173
	v_fma_f32 v62, v2, v164, -v8
	v_mul_f32_e32 v2, v5, v173
	v_fmac_f32_e32 v65, v3, v164
	v_fmac_f32_e32 v67, v5, v172
	v_fma_f32 v66, v4, v172, -v2
	ds_read2_b64 v[2:5], v225 offset0:36 offset1:126
	buffer_store_dword v9, off, s[20:23], 0 offset:444 ; 4-byte Folded Spill
	buffer_store_dword v10, off, s[20:23], 0 offset:448 ; 4-byte Folded Spill
	global_load_dwordx2 v[249:250], v[6:7], off offset:64
	s_waitcnt lgkmcnt(0)
	v_mul_f32_e32 v71, v2, v175
	v_fmac_f32_e32 v71, v3, v174
	v_mul_f32_e32 v8, v5, v10
	v_mul_f32_e32 v69, v4, v10
	v_fma_f32 v68, v4, v9, -v8
	v_mul_f32_e32 v4, v3, v175
	v_fmac_f32_e32 v69, v5, v9
	v_add_f32_e32 v9, v20, v24
	v_sub_f32_e32 v86, v39, v68
	v_fma_f32 v70, v2, v174, -v4
	ds_read2_b64 v[2:5], v91 offset0:88 offset1:178
	v_sub_f32_e32 v88, v40, v69
	s_waitcnt lgkmcnt(0)
	v_mul_f32_e32 v6, v3, v244
	v_mul_f32_e32 v73, v2, v244
	s_waitcnt vmcnt(0)
	v_mul_f32_e32 v75, v4, v250
	v_fma_f32 v72, v2, v243, -v6
	v_mul_f32_e32 v2, v5, v250
	v_fmac_f32_e32 v73, v3, v243
	v_sub_f32_e32 v3, v29, v24
	v_fmac_f32_e32 v75, v5, v249
	v_fma_f32 v74, v4, v249, -v2
	v_mul_u32_u24_sdwa v2, v12, v76 dst_sel:DWORD dst_unused:UNUSED_PAD src0_sel:WORD_0 src1_sel:DWORD
	v_add_lshl_u32 v104, v2, v13, 3
	v_sub_f32_e32 v2, v16, v20
	v_add_f32_e32 v12, v2, v3
	v_sub_f32_e32 v2, v17, v21
	v_sub_f32_e32 v3, v30, v25
	v_add_f32_e32 v13, v2, v3
	v_sub_f32_e32 v2, v39, v47
	;; [unrolled: 3-line block ×3, first 2 shown]
	v_sub_f32_e32 v3, v69, v57
	v_add_f32_e32 v81, v2, v3
	ds_read2_b64 v[2:5], v197 offset0:52 offset1:142
	s_waitcnt lgkmcnt(0)
	v_mul_f32_e32 v6, v5, v129
	v_mul_f32_e32 v83, v4, v129
	v_fma_f32 v82, v4, v128, -v6
	v_add_f32_e32 v4, v47, v56
	v_fmac_f32_e32 v83, v5, v128
	v_add_f32_e32 v10, v82, v39
	v_fma_f32 v84, -0.5, v4, v82
	v_add_f32_e32 v4, v48, v57
	v_add_f32_e32 v11, v83, v40
	;; [unrolled: 1-line block ×3, first 2 shown]
	v_fmamk_f32 v5, v88, 0x3f737871, v84
	v_fma_f32 v85, -0.5, v4, v83
	v_add_f32_e32 v11, v11, v48
	v_fmac_f32_e32 v84, 0xbf737871, v88
	v_add_f32_e32 v10, v10, v56
	v_fmac_f32_e32 v5, 0x3f167918, v89
	v_fmamk_f32 v4, v86, 0xbf737871, v85
	v_add_f32_e32 v11, v11, v57
	v_fmac_f32_e32 v85, 0x3f737871, v86
	v_add_f32_e32 v102, v10, v68
	v_fmac_f32_e32 v5, 0x3e9e377a, v80
	v_fmac_f32_e32 v4, 0xbf167918, v87
	v_add_f32_e32 v103, v11, v69
	v_fmac_f32_e32 v84, 0xbf167918, v89
	v_fmac_f32_e32 v85, 0x3f167918, v87
	v_mul_f32_e32 v91, 0xbf167918, v5
	v_fmac_f32_e32 v4, 0x3e9e377a, v81
	v_fmac_f32_e32 v84, 0x3e9e377a, v80
	;; [unrolled: 1-line block ×3, first 2 shown]
	v_mul_f32_e32 v90, 0x3f167918, v4
	v_fmac_f32_e32 v91, 0x3f4f1bbd, v4
	v_fmac_f32_e32 v90, 0x3f4f1bbd, v5
	ds_read2_b64 v[4:7], v229 offset1:90
	s_waitcnt lgkmcnt(0)
	s_waitcnt_vscnt null, 0x0
	s_barrier
	buffer_gl0_inv
	buffer_store_dword v104, off, s[20:23], 0 offset:480 ; 4-byte Folded Spill
	v_add_f32_e32 v8, v4, v16
	v_fma_f32 v92, -0.5, v9, v4
	v_add_f32_e32 v9, v5, v17
	v_fma_f32 v93, -0.5, v93, v5
	v_add_f32_e32 v8, v8, v20
	v_fmamk_f32 v97, v95, 0x3f737871, v92
	v_add_f32_e32 v9, v9, v21
	v_fmamk_f32 v100, v98, 0xbf737871, v93
	v_fmac_f32_e32 v92, 0xbf737871, v95
	v_add_f32_e32 v8, v8, v24
	v_fmac_f32_e32 v97, 0x3f167918, v96
	v_add_f32_e32 v9, v9, v25
	v_fmac_f32_e32 v100, 0xbf167918, v99
	v_fmac_f32_e32 v93, 0x3f737871, v98
	v_add_f32_e32 v94, v8, v29
	v_fmac_f32_e32 v97, 0x3e9e377a, v12
	v_add_f32_e32 v101, v9, v30
	v_fmac_f32_e32 v100, 0x3e9e377a, v13
	v_fmac_f32_e32 v92, 0xbf167918, v96
	v_add_f32_e32 v8, v94, v102
	v_add_f32_e32 v10, v97, v90
	;; [unrolled: 1-line block ×4, first 2 shown]
	v_fmac_f32_e32 v93, 0x3f167918, v99
	v_fmac_f32_e32 v92, 0x3e9e377a, v12
	v_mul_f32_e32 v12, 0xbf4f1bbd, v84
	ds_write2_b64 v104, v[8:9], v[10:11] offset1:3
	v_add_f32_e32 v9, v16, v29
	v_sub_f32_e32 v10, v24, v29
	v_sub_f32_e32 v11, v21, v17
	v_add_f32_e32 v21, v39, v68
	v_add_f32_e32 v29, v40, v69
	v_sub_f32_e32 v8, v20, v16
	v_add_f32_e32 v16, v17, v30
	v_sub_f32_e32 v17, v25, v30
	v_sub_f32_e32 v20, v47, v39
	;; [unrolled: 1-line block ×3, first 2 shown]
	v_fmac_f32_e32 v82, -0.5, v21
	v_fmac_f32_e32 v83, -0.5, v29
	v_sub_f32_e32 v25, v48, v40
	v_sub_f32_e32 v30, v57, v69
	v_add_f32_e32 v8, v8, v10
	v_add_f32_e32 v10, v11, v17
	;; [unrolled: 1-line block ×3, first 2 shown]
	v_fma_f32 v20, -0.5, v9, v4
	v_fma_f32 v16, -0.5, v16, v5
	v_fmamk_f32 v4, v89, 0xbf737871, v82
	v_fmac_f32_e32 v82, 0x3f737871, v89
	v_fmamk_f32 v5, v87, 0x3f737871, v83
	v_fmac_f32_e32 v83, 0xbf737871, v87
	v_add_f32_e32 v17, v25, v30
	v_fmamk_f32 v24, v99, 0x3f737871, v16
	v_fmac_f32_e32 v16, 0xbf737871, v99
	v_fmac_f32_e32 v4, 0x3f167918, v88
	;; [unrolled: 1-line block ×5, first 2 shown]
	v_fmamk_f32 v21, v96, 0xbf737871, v20
	v_fmac_f32_e32 v20, 0x3f737871, v96
	v_fmac_f32_e32 v24, 0xbf167918, v98
	;; [unrolled: 1-line block ×11, first 2 shown]
	v_mul_f32_e32 v10, 0x3f737871, v5
	v_mul_f32_e32 v11, 0xbf737871, v4
	;; [unrolled: 1-line block ×4, first 2 shown]
	v_fmac_f32_e32 v21, 0x3e9e377a, v8
	v_fmac_f32_e32 v20, 0x3e9e377a, v8
	;; [unrolled: 1-line block ×7, first 2 shown]
	v_mul_f32_e32 v13, 0xbf4f1bbd, v85
	v_add_f32_e32 v4, v21, v10
	v_add_f32_e32 v5, v24, v11
	;; [unrolled: 1-line block ×4, first 2 shown]
	v_fmac_f32_e32 v12, 0x3f167918, v85
	v_fmac_f32_e32 v13, 0xbf167918, v84
	v_sub_f32_e32 v39, v19, v32
	v_sub_f32_e32 v56, v18, v31
	ds_write2_b64 v104, v[4:5], v[8:9] offset0:6 offset1:9
	v_sub_f32_e32 v4, v94, v102
	v_sub_f32_e32 v5, v101, v103
	v_add_f32_e32 v8, v92, v12
	v_add_f32_e32 v9, v93, v13
	v_sub_f32_e32 v47, v23, v27
	v_sub_f32_e32 v68, v22, v26
	ds_write2_b64 v104, v[8:9], v[4:5] offset0:12 offset1:15
	v_sub_f32_e32 v4, v97, v90
	v_sub_f32_e32 v5, v100, v91
	v_sub_f32_e32 v8, v21, v10
	v_sub_f32_e32 v9, v24, v11
	v_sub_f32_e32 v21, v44, v73
	v_sub_f32_e32 v24, v53, v65
	ds_write2_b64 v104, v[4:5], v[8:9] offset0:18 offset1:21
	v_sub_f32_e32 v4, v20, v17
	v_sub_f32_e32 v5, v16, v25
	;; [unrolled: 1-line block ×6, first 2 shown]
	ds_write2_b64 v104, v[4:5], v[8:9] offset0:24 offset1:27
	v_sub_f32_e32 v4, v18, v22
	v_sub_f32_e32 v5, v31, v26
	v_add_f32_e32 v9, v23, v27
	v_add_f32_e32 v10, v4, v5
	v_sub_f32_e32 v4, v19, v23
	v_sub_f32_e32 v5, v32, v27
	v_fma_f32 v48, -0.5, v9, v7
	v_add_f32_e32 v11, v4, v5
	v_sub_f32_e32 v4, v43, v52
	v_sub_f32_e32 v5, v72, v62
	v_fmamk_f32 v57, v56, 0xbf737871, v48
	v_fmac_f32_e32 v48, 0x3f737871, v56
	v_add_f32_e32 v12, v4, v5
	v_sub_f32_e32 v4, v44, v53
	v_sub_f32_e32 v5, v73, v65
	v_fmac_f32_e32 v57, 0xbf167918, v68
	v_fmac_f32_e32 v48, 0x3f167918, v68
	v_add_f32_e32 v13, v4, v5
	v_add_f32_e32 v5, v52, v62
	v_mul_u32_u24_sdwa v4, v14, v76 dst_sel:DWORD dst_unused:UNUSED_PAD src0_sel:WORD_0 src1_sel:DWORD
	v_fmac_f32_e32 v57, 0x3e9e377a, v11
	v_fmac_f32_e32 v48, 0x3e9e377a, v11
	v_fma_f32 v14, -0.5, v5, v35
	v_add_f32_e32 v5, v53, v65
	v_add_lshl_u32 v81, v4, v15, 3
	v_add_f32_e32 v4, v6, v18
	v_fmamk_f32 v8, v21, 0x3f737871, v14
	v_fma_f32 v16, -0.5, v5, v36
	v_fmac_f32_e32 v14, 0xbf737871, v21
	v_add_f32_e32 v4, v4, v22
	buffer_store_dword v81, off, s[20:23], 0 offset:484 ; 4-byte Folded Spill
	v_fmac_f32_e32 v8, 0x3f167918, v24
	v_fmamk_f32 v5, v17, 0xbf737871, v16
	v_fmac_f32_e32 v16, 0x3f737871, v17
	v_add_f32_e32 v4, v4, v26
	v_fmac_f32_e32 v14, 0xbf167918, v24
	v_fmac_f32_e32 v8, 0x3e9e377a, v12
	v_fmac_f32_e32 v5, 0xbf167918, v20
	v_fmac_f32_e32 v16, 0x3f167918, v20
	v_add_f32_e32 v15, v4, v31
	v_add_f32_e32 v4, v22, v26
	v_mul_f32_e32 v29, 0xbf167918, v8
	v_fmac_f32_e32 v5, 0x3e9e377a, v13
	v_fmac_f32_e32 v14, 0x3e9e377a, v12
	;; [unrolled: 1-line block ×3, first 2 shown]
	v_fma_f32 v30, -0.5, v4, v6
	v_add_f32_e32 v4, v7, v19
	v_mul_f32_e32 v25, 0x3f167918, v5
	v_fmac_f32_e32 v29, 0x3f4f1bbd, v5
	v_add_f32_e32 v5, v35, v43
	v_fmamk_f32 v40, v39, 0x3f737871, v30
	v_add_f32_e32 v4, v4, v23
	v_fmac_f32_e32 v25, 0x3f4f1bbd, v8
	v_add_f32_e32 v8, v36, v44
	v_add_f32_e32 v5, v5, v52
	v_fmac_f32_e32 v40, 0x3f167918, v47
	v_add_f32_e32 v4, v4, v27
	v_add_f32_e32 v9, v57, v29
	;; [unrolled: 1-line block ×4, first 2 shown]
	v_fmac_f32_e32 v40, 0x3e9e377a, v10
	v_add_f32_e32 v69, v4, v32
	v_fmac_f32_e32 v30, 0xbf737871, v39
	v_add_f32_e32 v8, v8, v65
	v_add_f32_e32 v76, v5, v72
	v_mul_f32_e32 v11, 0xbf4f1bbd, v16
	v_fmac_f32_e32 v30, 0xbf167918, v47
	v_add_f32_e32 v80, v8, v73
	v_add_f32_e32 v4, v15, v76
	;; [unrolled: 1-line block ×3, first 2 shown]
	v_fmac_f32_e32 v11, 0xbf167918, v14
	v_fmac_f32_e32 v30, 0x3e9e377a, v10
	v_add_f32_e32 v5, v69, v80
	v_mul_f32_e32 v10, 0xbf4f1bbd, v14
	v_sub_f32_e32 v14, v45, v74
	ds_write2_b64 v81, v[4:5], v[8:9] offset1:3
	v_add_f32_e32 v8, v18, v31
	v_sub_f32_e32 v4, v22, v18
	v_sub_f32_e32 v5, v26, v31
	v_add_f32_e32 v9, v19, v32
	v_sub_f32_e32 v18, v27, v32
	v_fma_f32 v6, -0.5, v8, v6
	v_add_f32_e32 v8, v43, v72
	v_add_f32_e32 v4, v4, v5
	v_sub_f32_e32 v5, v23, v19
	v_fmac_f32_e32 v7, -0.5, v9
	v_fmamk_f32 v19, v47, 0xbf737871, v6
	v_fmac_f32_e32 v6, 0x3f737871, v47
	v_sub_f32_e32 v9, v62, v72
	v_fmac_f32_e32 v35, -0.5, v8
	v_sub_f32_e32 v8, v65, v73
	v_fmac_f32_e32 v19, 0x3f167918, v39
	v_fmac_f32_e32 v6, 0xbf167918, v39
	;; [unrolled: 1-line block ×3, first 2 shown]
	v_sub_f32_e32 v16, v46, v75
	v_fmac_f32_e32 v19, 0x3e9e377a, v4
	v_fmac_f32_e32 v6, 0x3e9e377a, v4
	v_add_f32_e32 v4, v5, v18
	v_fmamk_f32 v18, v68, 0x3f737871, v7
	v_fmac_f32_e32 v7, 0xbf737871, v68
	v_sub_f32_e32 v5, v52, v43
	v_fmac_f32_e32 v18, 0xbf167918, v56
	v_fmac_f32_e32 v7, 0x3f167918, v56
	v_fmac_f32_e32 v18, 0x3e9e377a, v4
	v_fmac_f32_e32 v7, 0x3e9e377a, v4
	v_add_f32_e32 v4, v5, v9
	v_add_f32_e32 v5, v44, v73
	v_fmamk_f32 v9, v24, 0xbf737871, v35
	v_fmac_f32_e32 v35, 0x3f737871, v24
	v_sub_f32_e32 v24, v42, v71
	v_fmac_f32_e32 v36, -0.5, v5
	v_sub_f32_e32 v5, v53, v44
	v_fmac_f32_e32 v9, 0x3f167918, v21
	v_fmac_f32_e32 v35, 0xbf167918, v21
	;; [unrolled: 1-line block ×4, first 2 shown]
	v_add_f32_e32 v4, v5, v8
	v_fmamk_f32 v5, v20, 0x3f737871, v36
	v_fmac_f32_e32 v36, 0xbf737871, v20
	v_mul_f32_e32 v23, 0xbf737871, v9
	v_mul_f32_e32 v26, 0xbe9e377a, v35
	v_mad_u16 v20, v33, 30, v34
	v_fmac_f32_e32 v5, 0xbf167918, v17
	v_fmac_f32_e32 v36, 0x3f167918, v17
	v_sub_f32_e32 v17, v55, v67
	v_sub_f32_e32 v34, v55, v46
	v_lshlrev_b32_sdwa v236, v206, v20 dst_sel:DWORD dst_unused:UNUSED_PAD src0_sel:DWORD src1_sel:WORD_0
	v_fmac_f32_e32 v5, 0x3e9e377a, v4
	v_fmac_f32_e32 v36, 0x3e9e377a, v4
	v_sub_f32_e32 v20, v66, v74
	v_mul_f32_e32 v22, 0x3f737871, v5
	v_mul_f32_e32 v27, 0xbe9e377a, v36
	v_fmac_f32_e32 v23, 0x3e9e377a, v5
	v_fmac_f32_e32 v26, 0x3f737871, v36
	v_sub_f32_e32 v36, v67, v75
	v_fmac_f32_e32 v22, 0x3e9e377a, v9
	v_fmac_f32_e32 v27, 0xbf737871, v35
	v_add_f32_e32 v5, v18, v23
	v_add_f32_e32 v8, v6, v26
	;; [unrolled: 1-line block ×5, first 2 shown]
	ds_write2_b64 v81, v[4:5], v[8:9] offset0:6 offset1:9
	v_sub_f32_e32 v4, v15, v76
	v_sub_f32_e32 v5, v69, v80
	v_add_f32_e32 v8, v30, v10
	v_add_f32_e32 v9, v48, v11
	v_sub_f32_e32 v15, v54, v66
	ds_write2_b64 v81, v[8:9], v[4:5] offset0:12 offset1:15
	v_sub_f32_e32 v4, v40, v25
	v_sub_f32_e32 v5, v57, v29
	;; [unrolled: 1-line block ×4, first 2 shown]
	v_add_f32_e32 v22, v49, v59
	v_sub_f32_e32 v25, v51, v60
	v_sub_f32_e32 v29, v49, v59
	ds_write2_b64 v81, v[4:5], v[8:9] offset0:18 offset1:21
	v_sub_f32_e32 v5, v7, v27
	v_sub_f32_e32 v4, v6, v26
	;; [unrolled: 1-line block ×4, first 2 shown]
	v_fma_f32 v22, -0.5, v22, v2
	v_sub_f32_e32 v27, v41, v70
	ds_write2_b64 v81, v[4:5], v[6:7] offset0:24 offset1:27
	v_sub_f32_e32 v4, v41, v49
	v_sub_f32_e32 v5, v70, v59
	v_add_f32_e32 v6, v37, v45
	v_add_f32_e32 v7, v38, v46
	v_fmamk_f32 v26, v24, 0x3f737871, v22
	v_fmac_f32_e32 v22, 0xbf737871, v24
	v_add_f32_e32 v8, v4, v5
	v_sub_f32_e32 v4, v42, v51
	v_sub_f32_e32 v5, v71, v60
	v_add_f32_e32 v6, v6, v54
	v_add_f32_e32 v7, v7, v55
	v_fmac_f32_e32 v26, 0x3f167918, v25
	v_fmac_f32_e32 v22, 0xbf167918, v25
	v_add_f32_e32 v9, v4, v5
	v_sub_f32_e32 v4, v45, v54
	v_sub_f32_e32 v5, v74, v66
	v_add_f32_e32 v6, v6, v66
	v_add_f32_e32 v7, v7, v67
	v_fmac_f32_e32 v26, 0x3e9e377a, v8
	v_fmac_f32_e32 v22, 0x3e9e377a, v8
	v_add_f32_e32 v10, v4, v5
	v_sub_f32_e32 v4, v46, v55
	v_sub_f32_e32 v5, v75, v67
	v_add_f32_e32 v32, v6, v74
	v_add_f32_e32 v33, v7, v75
	;; [unrolled: 1-line block ×4, first 2 shown]
	v_fma_f32 v12, -0.5, v4, v37
	v_add_f32_e32 v4, v55, v67
	v_fmamk_f32 v5, v16, 0x3f737871, v12
	v_fma_f32 v13, -0.5, v4, v38
	v_fmac_f32_e32 v38, -0.5, v35
	v_fmac_f32_e32 v12, 0xbf737871, v16
	v_fmac_f32_e32 v5, 0x3f167918, v17
	v_fmamk_f32 v4, v14, 0xbf737871, v13
	v_fmac_f32_e32 v13, 0x3f737871, v14
	v_fmac_f32_e32 v12, 0xbf167918, v17
	;; [unrolled: 1-line block ×6, first 2 shown]
	v_mul_f32_e32 v19, 0xbf167918, v5
	v_fmac_f32_e32 v4, 0x3e9e377a, v11
	v_fmac_f32_e32 v13, 0x3e9e377a, v11
	v_mul_f32_e32 v8, 0xbf4f1bbd, v12
	v_mul_f32_e32 v18, 0x3f167918, v4
	v_fmac_f32_e32 v19, 0x3f4f1bbd, v4
	v_add_f32_e32 v4, v51, v60
	v_fmac_f32_e32 v8, 0x3f167918, v13
	v_fmac_f32_e32 v18, 0x3f4f1bbd, v5
	v_add_f32_e32 v5, v3, v42
	v_fma_f32 v21, -0.5, v4, v3
	v_add_f32_e32 v4, v2, v41
	v_add_f32_e32 v6, v26, v18
	;; [unrolled: 1-line block ×3, first 2 shown]
	v_fmamk_f32 v30, v27, 0xbf737871, v21
	v_add_f32_e32 v4, v4, v49
	v_fmac_f32_e32 v21, 0x3f737871, v27
	v_add_f32_e32 v5, v5, v60
	v_fmac_f32_e32 v30, 0xbf167918, v29
	;; [unrolled: 2-line block ×5, first 2 shown]
	v_mul_f32_e32 v9, 0xbf4f1bbd, v13
	v_add_f32_e32 v5, v31, v33
	v_add_f32_e32 v7, v30, v19
	v_add_f32_e32 v4, v23, v32
	v_fmac_f32_e32 v9, 0xbf167918, v12
	v_lshrrev_b16 v12, 12, v1
	ds_write2_b64 v236, v[4:5], v[6:7] offset1:3
	v_add_f32_e32 v4, v42, v71
	v_sub_f32_e32 v5, v60, v71
	v_sub_f32_e32 v6, v54, v45
	v_add_f32_e32 v7, v45, v74
	v_mul_lo_u16 v1, v12, 30
	v_fmac_f32_e32 v3, -0.5, v4
	v_sub_f32_e32 v4, v51, v42
	v_fmac_f32_e32 v37, -0.5, v7
	v_sub_f32_e32 v7, v49, v41
	v_sub_nc_u16 v1, v61, v1
	v_add_f32_e32 v4, v4, v5
	v_add_f32_e32 v5, v6, v20
	v_sub_f32_e32 v20, v59, v70
	v_add_f32_e32 v6, v34, v36
	v_fmamk_f32 v35, v17, 0xbf737871, v37
	v_fmac_f32_e32 v37, 0x3f737871, v17
	v_add_f32_e32 v34, v41, v70
	v_add_f32_e32 v7, v7, v20
	v_fmamk_f32 v20, v15, 0x3f737871, v38
	v_fmac_f32_e32 v38, 0xbf737871, v15
	v_fmac_f32_e32 v37, 0xbf167918, v16
	v_fma_f32 v2, -0.5, v34, v2
	v_fmac_f32_e32 v35, 0x3f167918, v16
	v_fmac_f32_e32 v20, 0xbf167918, v14
	;; [unrolled: 1-line block ×4, first 2 shown]
	v_fmamk_f32 v34, v25, 0xbf737871, v2
	v_fmac_f32_e32 v2, 0x3f737871, v25
	v_fmac_f32_e32 v20, 0x3e9e377a, v6
	;; [unrolled: 1-line block ×6, first 2 shown]
	v_mul_f32_e32 v39, 0x3f737871, v20
	v_mul_f32_e32 v36, 0xbe9e377a, v38
	v_and_b32_e32 v13, 0xff, v1
	v_fmac_f32_e32 v34, 0x3e9e377a, v7
	v_fmac_f32_e32 v2, 0x3e9e377a, v7
	;; [unrolled: 1-line block ×4, first 2 shown]
	v_mul_f32_e32 v37, 0xbe9e377a, v37
	v_mul_f32_e32 v35, 0xbf737871, v35
	v_add_f32_e32 v6, v34, v39
	v_fmac_f32_e32 v37, 0x3f737871, v38
	v_fmamk_f32 v38, v29, 0x3f737871, v3
	v_fmac_f32_e32 v3, 0xbf737871, v29
	v_fmac_f32_e32 v35, 0x3e9e377a, v20
	;; [unrolled: 1-line block ×6, first 2 shown]
	v_add_f32_e32 v4, v2, v37
	v_sub_f32_e32 v2, v2, v37
	v_add_f32_e32 v7, v38, v35
	v_add_f32_e32 v5, v3, v36
	v_sub_f32_e32 v3, v3, v36
	ds_write2_b64 v236, v[6:7], v[4:5] offset0:6 offset1:9
	v_sub_f32_e32 v4, v23, v32
	v_sub_f32_e32 v5, v31, v33
	v_add_f32_e32 v6, v22, v8
	v_add_f32_e32 v7, v21, v9
	ds_write2_b64 v236, v[6:7], v[4:5] offset0:12 offset1:15
	v_sub_f32_e32 v4, v26, v18
	v_sub_f32_e32 v5, v30, v19
	v_sub_f32_e32 v6, v34, v39
	v_sub_f32_e32 v7, v38, v35
	ds_write2_b64 v236, v[4:5], v[6:7] offset0:18 offset1:21
	v_sub_f32_e32 v4, v22, v8
	v_lshrrev_b16 v8, 12, v0
	v_sub_f32_e32 v5, v21, v9
	v_mul_lo_u16 v0, v8, 30
	ds_write2_b64 v236, v[2:3], v[4:5] offset0:24 offset1:27
	s_waitcnt lgkmcnt(0)
	s_waitcnt_vscnt null, 0x0
	s_barrier
	buffer_gl0_inv
	v_sub_nc_u16 v0, v79, v0
	v_and_b32_e32 v9, 0xff, v0
	ds_read2_b64 v[0:3], v233 offset0:28 offset1:118
	v_mad_u64_u32 v[4:5], null, 0x48, v9, s[10:11]
	s_clause 0x1
	global_load_dwordx4 v[80:83], v[4:5], off offset:216
	global_load_dwordx4 v[88:91], v[4:5], off offset:232
	s_waitcnt vmcnt(1) lgkmcnt(0)
	v_mul_f32_e32 v6, v1, v83
	v_mul_f32_e32 v15, v0, v83
	v_fma_f32 v14, v0, v82, -v6
	v_mad_u64_u32 v[6:7], null, 0x48, v13, s[10:11]
	s_clause 0x1
	global_load_dwordx2 v[66:67], v[4:5], off offset:280
	global_load_dwordx4 v[84:87], v[6:7], off offset:216
	v_fmac_f32_e32 v15, v1, v82
	s_waitcnt vmcnt(0)
	v_mul_f32_e32 v0, v3, v87
	v_mul_f32_e32 v17, v2, v87
	v_fma_f32 v16, v2, v86, -v0
	v_fmac_f32_e32 v17, v3, v86
	ds_read2_b64 v[0:3], v235 offset0:56 offset1:146
	s_clause 0x3
	global_load_dwordx4 v[92:95], v[6:7], off offset:232
	global_load_dwordx4 v[104:107], v[6:7], off offset:248
	;; [unrolled: 1-line block ×4, first 2 shown]
	s_waitcnt lgkmcnt(0)
	v_mul_f32_e32 v10, v1, v91
	v_mul_f32_e32 v19, v0, v91
	v_fma_f32 v18, v0, v90, -v10
	v_fmac_f32_e32 v19, v1, v90
	s_waitcnt vmcnt(3)
	v_mul_f32_e32 v0, v3, v95
	v_mul_f32_e32 v21, v2, v95
	v_fma_f32 v20, v2, v94, -v0
	v_fmac_f32_e32 v21, v3, v94
	ds_read2_b64 v[0:3], v227 offset0:84 offset1:174
	s_waitcnt vmcnt(1) lgkmcnt(0)
	v_mul_f32_e32 v4, v1, v99
	v_mul_f32_e32 v23, v0, v99
	;; [unrolled: 1-line block ×3, first 2 shown]
	v_fma_f32 v22, v0, v98, -v4
	v_mul_f32_e32 v0, v3, v107
	v_fmac_f32_e32 v23, v1, v98
	v_fmac_f32_e32 v25, v3, v106
	v_sub_f32_e32 v207, v18, v22
	v_fma_f32 v24, v2, v106, -v0
	ds_read2_b64 v[0:3], v226 offset0:112 offset1:202
	s_clause 0x1
	global_load_dwordx2 v[68:69], v[6:7], off offset:280
	global_load_dwordx4 v[116:119], v[6:7], off offset:264
	v_sub_f32_e32 v202, v19, v23
	s_waitcnt vmcnt(2) lgkmcnt(0)
	v_mul_f32_e32 v4, v1, v111
	v_mul_f32_e32 v27, v0, v111
	v_fma_f32 v26, v0, v110, -v4
	v_fmac_f32_e32 v27, v1, v110
	v_sub_f32_e32 v204, v14, v26
	v_sub_f32_e32 v198, v15, v27
	s_waitcnt vmcnt(0)
	v_mul_f32_e32 v0, v3, v119
	v_mul_f32_e32 v30, v2, v119
	v_fma_f32 v29, v2, v118, -v0
	v_mov_b32_e32 v0, 0x8889
	v_fmac_f32_e32 v30, v3, v118
	v_mul_u32_u24_sdwa v0, v50, v0 dst_sel:DWORD dst_unused:UNUSED_PAD src0_sel:WORD_0 src1_sel:DWORD
	v_lshrrev_b32_e32 v31, 20, v0
	v_mul_lo_u16 v0, v31, 30
	v_sub_nc_u16 v32, v50, v0
	v_mul_lo_u16 v0, 0x48, v32
	v_and_b32_e32 v4, 0xffff, v0
	ds_read2_b64 v[0:3], v234 offset0:104 offset1:194
	v_add_co_u32 v6, s6, s10, v4
	v_add_co_ci_u32_e64 v7, null, s11, 0, s6
	s_clause 0x1
	global_load_dwordx4 v[100:103], v[6:7], off offset:216
	global_load_dwordx4 v[112:115], v[6:7], off offset:232
	s_waitcnt lgkmcnt(0)
	v_mul_f32_e32 v5, v1, v85
	v_mul_f32_e32 v34, v0, v85
	v_fma_f32 v33, v0, v84, -v5
	v_fmac_f32_e32 v34, v1, v84
	s_waitcnt vmcnt(1)
	v_mul_f32_e32 v0, v3, v101
	v_mul_f32_e32 v1, v2, v101
	v_fma_f32 v0, v2, v100, -v0
	v_fmac_f32_e32 v1, v3, v100
	ds_read2_b64 v[2:5], v223 offset0:80 offset1:170
	s_waitcnt lgkmcnt(0)
	v_mul_f32_e32 v10, v5, v89
	v_mul_f32_e32 v36, v4, v89
	;; [unrolled: 1-line block ×3, first 2 shown]
	v_fma_f32 v35, v4, v88, -v10
	v_mul_f32_e32 v4, v3, v103
	v_fmac_f32_e32 v36, v5, v88
	v_fmac_f32_e32 v38, v3, v102
	v_fma_f32 v37, v2, v102, -v4
	ds_read2_b64 v[2:5], v199 offset0:132 offset1:222
	s_waitcnt lgkmcnt(0)
	v_mul_f32_e32 v10, v3, v93
	v_mul_f32_e32 v40, v2, v93
	s_waitcnt vmcnt(0)
	v_mul_f32_e32 v42, v4, v113
	v_fma_f32 v39, v2, v92, -v10
	v_mul_f32_e32 v2, v5, v113
	v_fmac_f32_e32 v40, v3, v92
	v_fmac_f32_e32 v42, v5, v112
	v_fma_f32 v41, v4, v112, -v2
	ds_read2_b64 v[2:5], v179 offset0:108 offset1:198
	s_waitcnt lgkmcnt(0)
	v_mul_f32_e32 v10, v5, v97
	v_mul_f32_e32 v44, v4, v97
	;; [unrolled: 1-line block ×3, first 2 shown]
	v_fma_f32 v43, v4, v96, -v10
	v_mul_f32_e32 v4, v3, v115
	v_fmac_f32_e32 v44, v5, v96
	v_fmac_f32_e32 v46, v3, v114
	v_fma_f32 v45, v2, v114, -v4
	ds_read2_b64 v[2:5], v228 offset0:160 offset1:250
	s_clause 0x1
	global_load_dwordx4 v[120:123], v[6:7], off offset:248
	global_load_dwordx4 v[124:127], v[6:7], off offset:264
	s_waitcnt lgkmcnt(0)
	v_mul_f32_e32 v10, v3, v105
	v_mul_f32_e32 v48, v2, v105
	v_fma_f32 v47, v2, v104, -v10
	v_fmac_f32_e32 v48, v3, v104
	s_waitcnt vmcnt(1)
	v_mul_f32_e32 v2, v5, v121
	v_mul_f32_e32 v51, v4, v121
	v_fma_f32 v49, v4, v120, -v2
	v_fmac_f32_e32 v51, v5, v120
	ds_read2_b64 v[2:5], v189 offset0:8 offset1:98
	s_waitcnt lgkmcnt(0)
	v_mul_f32_e32 v10, v5, v109
	v_mul_f32_e32 v53, v4, v109
	;; [unrolled: 1-line block ×3, first 2 shown]
	v_fma_f32 v52, v4, v108, -v10
	v_mul_f32_e32 v4, v3, v123
	v_fmac_f32_e32 v53, v5, v108
	v_fmac_f32_e32 v55, v3, v122
	v_sub_f32_e32 v185, v43, v52
	v_fma_f32 v54, v2, v122, -v4
	ds_read2_b64 v[2:5], v232 offset0:60 offset1:150
	v_sub_f32_e32 v187, v44, v53
	s_waitcnt lgkmcnt(0)
	v_mul_f32_e32 v10, v3, v117
	v_mul_f32_e32 v57, v2, v117
	s_waitcnt vmcnt(0)
	v_mul_f32_e32 v60, v4, v125
	v_fma_f32 v56, v2, v116, -v10
	v_mul_f32_e32 v2, v5, v125
	v_fmac_f32_e32 v57, v3, v116
	v_fmac_f32_e32 v60, v5, v124
	v_fma_f32 v59, v4, v124, -v2
	ds_read2_b64 v[2:5], v225 offset0:36 offset1:126
	buffer_store_dword v66, off, s[20:23], 0 offset:416 ; 4-byte Folded Spill
	buffer_store_dword v67, off, s[20:23], 0 offset:420 ; 4-byte Folded Spill
	global_load_dwordx2 v[70:71], v[6:7], off offset:280
	s_waitcnt lgkmcnt(0)
	v_mul_f32_e32 v10, v5, v67
	v_mul_f32_e32 v65, v4, v67
	;; [unrolled: 1-line block ×3, first 2 shown]
	v_fma_f32 v62, v4, v66, -v10
	v_mov_b32_e32 v10, v68
	v_mul_f32_e32 v4, v3, v127
	v_mov_b32_e32 v11, v69
	v_fmac_f32_e32 v65, v5, v66
	v_fmac_f32_e32 v67, v3, v126
	v_sub_f32_e32 v184, v35, v62
	v_fma_f32 v66, v2, v126, -v4
	ds_read2_b64 v[2:5], v181 offset0:88 offset1:178
	buffer_store_dword v10, off, s[20:23], 0 offset:424 ; 4-byte Folded Spill
	buffer_store_dword v11, off, s[20:23], 0 offset:428 ; 4-byte Folded Spill
	v_sub_f32_e32 v186, v36, v65
	s_waitcnt lgkmcnt(0)
	v_mul_f32_e32 v6, v3, v11
	v_mul_f32_e32 v69, v2, v11
	v_add_f32_e32 v11, v19, v23
	v_fma_f32 v68, v2, v10, -v6
	s_waitcnt vmcnt(0)
	v_mov_b32_e32 v6, v70
	v_mov_b32_e32 v7, v71
	buffer_store_dword v6, off, s[20:23], 0 offset:432 ; 4-byte Folded Spill
	buffer_store_dword v7, off, s[20:23], 0 offset:436 ; 4-byte Folded Spill
	v_fmac_f32_e32 v69, v3, v10
	v_sub_f32_e32 v3, v26, v22
	v_mul_f32_e32 v2, v5, v7
	v_mul_f32_e32 v71, v4, v7
	v_fma_f32 v70, v4, v6, -v2
	v_sub_f32_e32 v2, v14, v18
	v_fmac_f32_e32 v71, v5, v6
	v_add_f32_e32 v72, v2, v3
	v_sub_f32_e32 v2, v15, v19
	v_sub_f32_e32 v3, v27, v23
	v_add_f32_e32 v73, v2, v3
	v_sub_f32_e32 v2, v35, v43
	v_sub_f32_e32 v3, v62, v52
	;; [unrolled: 3-line block ×3, first 2 shown]
	v_add_f32_e32 v75, v2, v3
	ds_read2_b64 v[2:5], v197 offset0:52 offset1:142
	s_waitcnt lgkmcnt(0)
	v_mul_f32_e32 v6, v5, v81
	v_mul_f32_e32 v181, v4, v81
	v_fma_f32 v76, v4, v80, -v6
	v_add_f32_e32 v4, v43, v52
	v_fmac_f32_e32 v181, v5, v80
	v_fma_f32 v182, -0.5, v4, v76
	v_add_f32_e32 v4, v44, v53
	v_add_f32_e32 v10, v181, v36
	v_fmamk_f32 v5, v186, 0x3f737871, v182
	v_fma_f32 v183, -0.5, v4, v181
	v_add_f32_e32 v10, v10, v44
	v_fmac_f32_e32 v182, 0xbf737871, v186
	v_fmac_f32_e32 v5, 0x3f167918, v187
	v_fmamk_f32 v4, v184, 0xbf737871, v183
	v_add_f32_e32 v10, v10, v53
	v_fmac_f32_e32 v183, 0x3f737871, v184
	v_fmac_f32_e32 v182, 0xbf167918, v187
	v_fmac_f32_e32 v5, 0x3e9e377a, v74
	v_fmac_f32_e32 v4, 0xbf167918, v185
	v_add_f32_e32 v210, v10, v65
	v_fmac_f32_e32 v183, 0x3f167918, v185
	v_fmac_f32_e32 v182, 0x3e9e377a, v74
	v_mul_f32_e32 v193, 0xbf167918, v5
	v_fmac_f32_e32 v4, 0x3e9e377a, v75
	v_fmac_f32_e32 v183, 0x3e9e377a, v75
	v_mul_f32_e32 v188, 0x3f167918, v4
	v_fmac_f32_e32 v193, 0x3f4f1bbd, v4
	v_mul_u32_u24_sdwa v4, v8, v194 dst_sel:DWORD dst_unused:UNUSED_PAD src0_sel:WORD_0 src1_sel:DWORD
	v_fmac_f32_e32 v188, 0x3f4f1bbd, v5
	v_add_lshl_u32 v191, v4, v9, 3
	ds_read2_b64 v[4:7], v229 offset1:90
	v_add_f32_e32 v9, v76, v35
	s_waitcnt lgkmcnt(0)
	s_waitcnt_vscnt null, 0x0
	s_barrier
	buffer_gl0_inv
	buffer_store_dword v191, off, s[20:23], 0 offset:328 ; 4-byte Folded Spill
	v_add_f32_e32 v9, v9, v43
	buffer_store_dword v211, off, s[20:23], 0 offset:248 ; 4-byte Folded Spill
	v_add_f32_e32 v9, v9, v52
	v_add_f32_e32 v209, v9, v62
	;; [unrolled: 1-line block ×3, first 2 shown]
	v_fma_f32 v203, -0.5, v11, v5
	v_add_f32_e32 v8, v8, v18
	v_fmamk_f32 v205, v204, 0xbf737871, v203
	v_fmac_f32_e32 v203, 0x3f737871, v204
	v_add_f32_e32 v8, v8, v22
	v_fmac_f32_e32 v205, 0xbf167918, v207
	v_fmac_f32_e32 v203, 0x3f167918, v207
	v_add_f32_e32 v195, v8, v26
	v_add_f32_e32 v8, v18, v22
	v_fmac_f32_e32 v205, 0x3e9e377a, v73
	v_fmac_f32_e32 v203, 0x3e9e377a, v73
	v_fma_f32 v196, -0.5, v8, v4
	v_add_f32_e32 v8, v5, v15
	v_add_f32_e32 v11, v205, v193
	v_fmamk_f32 v200, v198, 0x3f737871, v196
	v_add_f32_e32 v8, v8, v19
	v_fmac_f32_e32 v196, 0xbf737871, v198
	v_fmac_f32_e32 v200, 0x3f167918, v202
	v_add_f32_e32 v8, v8, v23
	v_fmac_f32_e32 v196, 0xbf167918, v202
	v_fmac_f32_e32 v200, 0x3e9e377a, v72
	v_add_f32_e32 v208, v8, v27
	v_add_f32_e32 v8, v195, v209
	v_fmac_f32_e32 v196, 0x3e9e377a, v72
	v_sub_f32_e32 v72, v20, v24
	v_add_f32_e32 v10, v200, v188
	v_add_f32_e32 v9, v208, v210
	ds_write2_b64 v191, v[8:9], v[10:11] offset1:30
	v_add_f32_e32 v10, v14, v26
	v_sub_f32_e32 v8, v18, v14
	v_sub_f32_e32 v9, v22, v26
	v_add_f32_e32 v14, v35, v62
	v_mul_f32_e32 v26, 0xbf4f1bbd, v182
	v_fma_f32 v10, -0.5, v10, v4
	v_sub_f32_e32 v4, v19, v15
	v_add_f32_e32 v8, v8, v9
	v_add_f32_e32 v9, v15, v27
	v_fmac_f32_e32 v76, -0.5, v14
	v_fmamk_f32 v11, v202, 0xbf737871, v10
	v_fmac_f32_e32 v10, 0x3f737871, v202
	v_sub_f32_e32 v15, v52, v62
	v_fma_f32 v18, -0.5, v9, v5
	v_add_f32_e32 v5, v36, v65
	v_fmac_f32_e32 v11, 0x3f167918, v198
	v_fmac_f32_e32 v10, 0xbf167918, v198
	v_fmamk_f32 v9, v187, 0xbf737871, v76
	v_fmamk_f32 v19, v207, 0x3f737871, v18
	v_fmac_f32_e32 v18, 0xbf737871, v207
	v_fmac_f32_e32 v11, 0x3e9e377a, v8
	v_fmac_f32_e32 v10, 0x3e9e377a, v8
	v_sub_f32_e32 v8, v23, v27
	v_fmac_f32_e32 v19, 0xbf167918, v204
	v_fmac_f32_e32 v18, 0x3f167918, v204
	;; [unrolled: 1-line block ×3, first 2 shown]
	v_fmac_f32_e32 v181, -0.5, v5
	v_add_f32_e32 v4, v4, v8
	v_sub_f32_e32 v8, v43, v35
	v_sub_f32_e32 v5, v44, v36
	v_fmac_f32_e32 v9, 0x3f167918, v186
	v_fmac_f32_e32 v76, 0xbf167918, v186
	;; [unrolled: 1-line block ×4, first 2 shown]
	v_add_f32_e32 v4, v8, v15
	v_sub_f32_e32 v8, v53, v65
	v_mul_f32_e32 v27, 0xbf4f1bbd, v183
	v_fmac_f32_e32 v26, 0x3f167918, v183
	v_sub_f32_e32 v43, v17, v30
	v_fmac_f32_e32 v9, 0x3e9e377a, v4
	v_fmac_f32_e32 v76, 0x3e9e377a, v4
	v_add_f32_e32 v4, v5, v8
	v_fmamk_f32 v5, v185, 0x3f737871, v181
	v_fmac_f32_e32 v181, 0xbf737871, v185
	v_mul_f32_e32 v15, 0xbf737871, v9
	v_mul_f32_e32 v22, 0xbe9e377a, v76
	v_fmac_f32_e32 v27, 0xbf167918, v182
	v_fmac_f32_e32 v5, 0xbf167918, v184
	;; [unrolled: 1-line block ×3, first 2 shown]
	v_sub_f32_e32 v62, v16, v29
	v_sub_f32_e32 v52, v21, v25
	v_fmac_f32_e32 v5, 0x3e9e377a, v4
	v_fmac_f32_e32 v181, 0x3e9e377a, v4
	v_mul_f32_e32 v14, 0x3f737871, v5
	v_mul_f32_e32 v23, 0xbe9e377a, v181
	v_fmac_f32_e32 v15, 0x3e9e377a, v5
	v_fmac_f32_e32 v22, 0x3f737871, v181
	;; [unrolled: 1-line block ×4, first 2 shown]
	v_add_f32_e32 v5, v19, v15
	v_add_f32_e32 v8, v10, v22
	;; [unrolled: 1-line block ×4, first 2 shown]
	ds_write2_b64 v191, v[4:5], v[8:9] offset0:60 offset1:90
	v_sub_f32_e32 v4, v195, v209
	v_sub_f32_e32 v5, v208, v210
	v_add_f32_e32 v8, v196, v26
	v_add_f32_e32 v9, v203, v27
	ds_write2_b64 v191, v[8:9], v[4:5] offset0:120 offset1:150
	v_sub_f32_e32 v4, v200, v188
	v_sub_f32_e32 v5, v205, v193
	;; [unrolled: 1-line block ×5, first 2 shown]
	ds_write2_b64 v191, v[4:5], v[8:9] offset0:180 offset1:210
	v_sub_f32_e32 v4, v10, v22
	v_sub_f32_e32 v5, v18, v23
	;; [unrolled: 1-line block ×4, first 2 shown]
	v_add_nc_u32_e32 v10, 0x400, v191
	v_sub_f32_e32 v23, v40, v69
	v_sub_f32_e32 v22, v47, v56
	;; [unrolled: 1-line block ×3, first 2 shown]
	v_mov_b32_e32 v191, v230
	ds_write2_b64 v10, v[4:5], v[8:9] offset0:112 offset1:142
	v_sub_f32_e32 v4, v16, v20
	v_sub_f32_e32 v5, v29, v24
	buffer_store_dword v10, off, s[20:23], 0 offset:320 ; 4-byte Folded Spill
	v_add_f32_e32 v9, v21, v25
	v_add_f32_e32 v10, v4, v5
	v_sub_f32_e32 v4, v17, v21
	v_sub_f32_e32 v5, v30, v25
	v_fma_f32 v53, -0.5, v9, v7
	v_add_f32_e32 v11, v4, v5
	v_sub_f32_e32 v4, v39, v47
	v_sub_f32_e32 v5, v68, v56
	v_fmamk_f32 v65, v62, 0xbf737871, v53
	v_fmac_f32_e32 v53, 0x3f737871, v62
	v_add_f32_e32 v14, v4, v5
	v_sub_f32_e32 v4, v40, v48
	v_sub_f32_e32 v5, v69, v57
	v_fmac_f32_e32 v65, 0xbf167918, v72
	v_fmac_f32_e32 v53, 0x3f167918, v72
	v_add_f32_e32 v15, v4, v5
	v_add_f32_e32 v5, v47, v56
	v_mul_u32_u24_sdwa v4, v12, v194 dst_sel:DWORD dst_unused:UNUSED_PAD src0_sel:WORD_0 src1_sel:DWORD
	v_fmac_f32_e32 v65, 0x3e9e377a, v11
	v_fmac_f32_e32 v53, 0x3e9e377a, v11
	v_fma_f32 v12, -0.5, v5, v33
	v_add_f32_e32 v5, v48, v57
	v_add_lshl_u32 v76, v4, v13, 3
	v_add_f32_e32 v4, v6, v16
	v_fmamk_f32 v8, v23, 0x3f737871, v12
	v_fma_f32 v18, -0.5, v5, v34
	v_fmac_f32_e32 v12, 0xbf737871, v23
	v_add_f32_e32 v4, v4, v20
	buffer_store_dword v76, off, s[20:23], 0 offset:324 ; 4-byte Folded Spill
	v_fmac_f32_e32 v8, 0x3f167918, v26
	v_fmamk_f32 v5, v19, 0xbf737871, v18
	v_fmac_f32_e32 v18, 0x3f737871, v19
	v_add_f32_e32 v4, v4, v24
	v_fmac_f32_e32 v12, 0xbf167918, v26
	v_fmac_f32_e32 v8, 0x3e9e377a, v14
	;; [unrolled: 1-line block ×4, first 2 shown]
	v_add_f32_e32 v13, v4, v29
	v_add_f32_e32 v4, v20, v24
	v_mul_f32_e32 v35, 0xbf167918, v8
	v_fmac_f32_e32 v5, 0x3e9e377a, v15
	v_fmac_f32_e32 v12, 0x3e9e377a, v14
	;; [unrolled: 1-line block ×3, first 2 shown]
	v_fma_f32 v36, -0.5, v4, v6
	v_add_f32_e32 v4, v7, v17
	v_mul_f32_e32 v27, 0x3f167918, v5
	v_fmac_f32_e32 v35, 0x3f4f1bbd, v5
	v_add_f32_e32 v5, v33, v39
	v_fmamk_f32 v44, v43, 0x3f737871, v36
	v_add_f32_e32 v4, v4, v21
	v_fmac_f32_e32 v27, 0x3f4f1bbd, v8
	v_add_f32_e32 v8, v34, v40
	v_add_f32_e32 v5, v5, v47
	v_fmac_f32_e32 v44, 0x3f167918, v52
	v_add_f32_e32 v4, v4, v25
	v_add_f32_e32 v9, v65, v35
	;; [unrolled: 1-line block ×4, first 2 shown]
	v_fmac_f32_e32 v44, 0x3e9e377a, v10
	v_add_f32_e32 v73, v4, v30
	v_fmac_f32_e32 v36, 0xbf737871, v43
	v_add_f32_e32 v8, v8, v57
	v_add_f32_e32 v74, v5, v68
	v_mul_f32_e32 v11, 0xbf4f1bbd, v18
	v_sub_f32_e32 v14, v41, v70
	v_fmac_f32_e32 v36, 0xbf167918, v52
	v_add_f32_e32 v75, v8, v69
	v_add_f32_e32 v4, v13, v74
	;; [unrolled: 1-line block ×3, first 2 shown]
	v_fmac_f32_e32 v11, 0xbf167918, v12
	v_fmac_f32_e32 v36, 0x3e9e377a, v10
	v_add_f32_e32 v5, v73, v75
	v_mul_f32_e32 v10, 0xbf4f1bbd, v12
	v_sub_f32_e32 v15, v49, v59
	ds_write2_b64 v76, v[4:5], v[8:9] offset1:30
	v_add_f32_e32 v8, v16, v29
	v_sub_f32_e32 v4, v20, v16
	v_sub_f32_e32 v5, v24, v29
	v_add_f32_e32 v9, v17, v30
	v_sub_f32_e32 v16, v25, v30
	v_fma_f32 v6, -0.5, v8, v6
	v_add_f32_e32 v8, v39, v68
	v_add_f32_e32 v4, v4, v5
	v_sub_f32_e32 v5, v21, v17
	v_fmac_f32_e32 v7, -0.5, v9
	v_fmamk_f32 v17, v52, 0xbf737871, v6
	v_fmac_f32_e32 v6, 0x3f737871, v52
	v_sub_f32_e32 v9, v56, v68
	v_fmac_f32_e32 v33, -0.5, v8
	v_sub_f32_e32 v8, v57, v69
	v_fmac_f32_e32 v17, 0x3f167918, v43
	v_fmac_f32_e32 v6, 0xbf167918, v43
	;; [unrolled: 1-line block ×3, first 2 shown]
	v_sub_f32_e32 v30, v45, v54
	v_fmac_f32_e32 v17, 0x3e9e377a, v4
	v_fmac_f32_e32 v6, 0x3e9e377a, v4
	v_add_f32_e32 v4, v5, v16
	v_fmamk_f32 v16, v72, 0x3f737871, v7
	v_fmac_f32_e32 v7, 0xbf737871, v72
	v_sub_f32_e32 v5, v47, v39
	v_fmac_f32_e32 v16, 0xbf167918, v62
	v_fmac_f32_e32 v7, 0x3f167918, v62
	;; [unrolled: 1-line block ×4, first 2 shown]
	v_add_f32_e32 v4, v5, v9
	v_add_f32_e32 v5, v40, v69
	v_fmamk_f32 v9, v26, 0xbf737871, v33
	v_fmac_f32_e32 v33, 0x3f737871, v26
	v_fmac_f32_e32 v34, -0.5, v5
	v_sub_f32_e32 v5, v48, v40
	v_fmac_f32_e32 v9, 0x3f167918, v23
	v_fmac_f32_e32 v33, 0xbf167918, v23
	v_sub_f32_e32 v23, v38, v67
	v_fmac_f32_e32 v9, 0x3e9e377a, v4
	v_fmac_f32_e32 v33, 0x3e9e377a, v4
	v_add_f32_e32 v4, v5, v8
	v_fmamk_f32 v5, v22, 0x3f737871, v34
	v_fmac_f32_e32 v34, 0xbf737871, v22
	v_mul_f32_e32 v21, 0xbf737871, v9
	v_mul_f32_e32 v24, 0xbe9e377a, v33
	v_fmac_f32_e32 v5, 0xbf167918, v19
	v_fmac_f32_e32 v34, 0x3f167918, v19
	;; [unrolled: 1-line block ×4, first 2 shown]
	v_mul_f32_e32 v20, 0x3f737871, v5
	v_mul_f32_e32 v25, 0xbe9e377a, v34
	v_fmac_f32_e32 v21, 0x3e9e377a, v5
	v_fmac_f32_e32 v24, 0x3f737871, v34
	;; [unrolled: 1-line block ×4, first 2 shown]
	v_add_f32_e32 v5, v16, v21
	v_add_f32_e32 v8, v6, v24
	;; [unrolled: 1-line block ×4, first 2 shown]
	ds_write2_b64 v76, v[4:5], v[8:9] offset0:60 offset1:90
	v_sub_f32_e32 v4, v13, v74
	v_sub_f32_e32 v5, v73, v75
	v_add_f32_e32 v8, v36, v10
	v_add_f32_e32 v9, v53, v11
	ds_write2_b64 v76, v[8:9], v[4:5] offset0:120 offset1:150
	v_sub_f32_e32 v4, v44, v27
	v_sub_f32_e32 v5, v65, v35
	;; [unrolled: 1-line block ×7, first 2 shown]
	v_mad_u16 v20, 0x12c, v31, v32
	ds_write2_b64 v76, v[4:5], v[8:9] offset0:180 offset1:210
	v_sub_f32_e32 v5, v7, v25
	v_sub_f32_e32 v4, v6, v24
	v_sub_f32_e32 v6, v36, v10
	v_sub_f32_e32 v7, v53, v11
	v_add_nc_u32_e32 v8, 0x400, v76
	v_sub_f32_e32 v25, v46, v55
	v_lshlrev_b32_sdwa v20, v206, v20 dst_sel:DWORD dst_unused:UNUSED_PAD src0_sel:DWORD src1_sel:WORD_0
	ds_write2_b64 v8, v[4:5], v[6:7] offset0:112 offset1:142
	v_sub_f32_e32 v4, v37, v45
	v_sub_f32_e32 v5, v66, v54
	buffer_store_dword v8, off, s[20:23], 0 offset:300 ; 4-byte Folded Spill
	v_add_f32_e32 v7, v46, v55
	v_add_f32_e32 v6, v1, v42
	v_mov_b32_e32 v39, v20
	v_add_f32_e32 v8, v4, v5
	v_sub_f32_e32 v4, v38, v46
	v_sub_f32_e32 v5, v67, v55
	v_fma_f32 v26, -0.5, v7, v3
	v_add_f32_e32 v6, v6, v51
	buffer_store_dword v39, off, s[20:23], 0 offset:296 ; 4-byte Folded Spill
	v_add_f32_e32 v9, v4, v5
	v_sub_f32_e32 v4, v41, v49
	v_sub_f32_e32 v5, v70, v59
	v_fmamk_f32 v29, v27, 0xbf737871, v26
	v_add_f32_e32 v6, v6, v60
	v_fmac_f32_e32 v26, 0x3f737871, v27
	v_add_f32_e32 v10, v4, v5
	v_sub_f32_e32 v4, v42, v51
	v_sub_f32_e32 v5, v71, v60
	v_fmac_f32_e32 v29, 0xbf167918, v30
	v_add_f32_e32 v33, v6, v71
	v_fmac_f32_e32 v26, 0x3f167918, v30
	v_add_f32_e32 v11, v4, v5
	v_add_f32_e32 v4, v49, v59
	v_fmac_f32_e32 v29, 0x3e9e377a, v9
	v_fmac_f32_e32 v26, 0x3e9e377a, v9
	v_fma_f32 v12, -0.5, v4, v0
	v_add_f32_e32 v4, v51, v60
	v_fmamk_f32 v5, v16, 0x3f737871, v12
	v_fma_f32 v13, -0.5, v4, v1
	v_fmac_f32_e32 v12, 0xbf737871, v16
	v_fmac_f32_e32 v5, 0x3f167918, v17
	v_fmamk_f32 v4, v14, 0xbf737871, v13
	v_fmac_f32_e32 v13, 0x3f737871, v14
	v_fmac_f32_e32 v12, 0xbf167918, v17
	;; [unrolled: 1-line block ×6, first 2 shown]
	v_mul_f32_e32 v19, 0xbf167918, v5
	v_fmac_f32_e32 v4, 0x3e9e377a, v11
	v_fmac_f32_e32 v13, 0x3e9e377a, v11
	v_mul_f32_e32 v18, 0x3f167918, v4
	v_fmac_f32_e32 v19, 0x3f4f1bbd, v4
	v_add_f32_e32 v4, v2, v37
	v_mul_f32_e32 v9, 0xbf4f1bbd, v13
	v_fmac_f32_e32 v18, 0x3f4f1bbd, v5
	v_add_f32_e32 v5, v0, v41
	v_add_f32_e32 v4, v4, v45
	v_add_f32_e32 v7, v29, v19
	v_fmac_f32_e32 v9, 0xbf167918, v12
	v_add_f32_e32 v5, v5, v49
	v_add_f32_e32 v4, v4, v54
	;; [unrolled: 1-line block ×6, first 2 shown]
	v_fma_f32 v22, -0.5, v4, v2
	v_add_f32_e32 v4, v3, v38
	v_fmamk_f32 v24, v23, 0x3f737871, v22
	v_add_f32_e32 v4, v4, v46
	v_fmac_f32_e32 v22, 0xbf737871, v23
	v_fmac_f32_e32 v24, 0x3f167918, v25
	v_add_f32_e32 v4, v4, v55
	v_fmac_f32_e32 v22, 0xbf167918, v25
	v_fmac_f32_e32 v24, 0x3e9e377a, v8
	v_add_f32_e32 v31, v4, v67
	v_add_f32_e32 v4, v21, v32
	v_fmac_f32_e32 v22, 0x3e9e377a, v8
	v_mul_f32_e32 v8, 0xbf4f1bbd, v12
	v_add_f32_e32 v6, v24, v18
	v_add_f32_e32 v5, v31, v33
	v_fmac_f32_e32 v8, 0x3f167918, v13
	ds_write2_b64 v20, v[4:5], v[6:7] offset1:30
	v_add_f32_e32 v6, v37, v66
	v_add_f32_e32 v7, v38, v67
	v_sub_f32_e32 v4, v45, v37
	v_sub_f32_e32 v5, v54, v66
	;; [unrolled: 1-line block ×3, first 2 shown]
	v_fma_f32 v2, -0.5, v6, v2
	v_fmac_f32_e32 v3, -0.5, v7
	v_add_f32_e32 v7, v41, v70
	v_add_f32_e32 v4, v4, v5
	v_sub_f32_e32 v5, v46, v38
	v_fmamk_f32 v6, v25, 0xbf737871, v2
	v_fmac_f32_e32 v2, 0x3f737871, v25
	v_fmamk_f32 v34, v30, 0x3f737871, v3
	v_fmac_f32_e32 v3, 0xbf737871, v30
	v_fmac_f32_e32 v0, -0.5, v7
	v_fmac_f32_e32 v6, 0x3f167918, v23
	v_fmac_f32_e32 v2, 0xbf167918, v23
	;; [unrolled: 1-line block ×4, first 2 shown]
	v_sub_f32_e32 v7, v60, v71
	v_fmac_f32_e32 v6, 0x3e9e377a, v4
	v_fmac_f32_e32 v2, 0x3e9e377a, v4
	v_add_f32_e32 v4, v5, v20
	v_sub_f32_e32 v5, v49, v41
	v_sub_f32_e32 v20, v59, v70
	v_fmac_f32_e32 v34, 0x3e9e377a, v4
	v_fmac_f32_e32 v3, 0x3e9e377a, v4
	v_add_f32_e32 v4, v5, v20
	v_add_f32_e32 v5, v42, v71
	v_fmamk_f32 v20, v17, 0xbf737871, v0
	v_fmac_f32_e32 v0, 0x3f737871, v17
	v_fmac_f32_e32 v1, -0.5, v5
	v_sub_f32_e32 v5, v51, v42
	v_fmac_f32_e32 v20, 0x3f167918, v16
	v_fmac_f32_e32 v0, 0xbf167918, v16
	;; [unrolled: 1-line block ×4, first 2 shown]
	v_add_f32_e32 v4, v5, v7
	v_fmamk_f32 v5, v15, 0x3f737871, v1
	v_fmac_f32_e32 v1, 0xbf737871, v15
	v_mul_f32_e32 v35, 0xbe9e377a, v0
	v_fmac_f32_e32 v5, 0xbf167918, v14
	v_fmac_f32_e32 v1, 0x3f167918, v14
	v_fmac_f32_e32 v5, 0x3e9e377a, v4
	v_fmac_f32_e32 v1, 0x3e9e377a, v4
	v_mul_f32_e32 v7, 0x3f737871, v5
	v_mul_f32_e32 v36, 0xbe9e377a, v1
	v_fmac_f32_e32 v35, 0x3f737871, v1
	v_fmac_f32_e32 v7, 0x3e9e377a, v20
	v_mul_f32_e32 v20, 0xbf737871, v20
	v_fmac_f32_e32 v36, 0xbf737871, v0
	v_add_f32_e32 v4, v2, v35
	v_add_f32_e32 v0, v6, v7
	v_fmac_f32_e32 v20, 0x3e9e377a, v5
	v_add_f32_e32 v5, v3, v36
	v_add_f32_e32 v1, v34, v20
	ds_write2_b64 v39, v[0:1], v[4:5] offset0:60 offset1:90
	v_sub_f32_e32 v0, v21, v32
	v_sub_f32_e32 v1, v31, v33
	v_add_f32_e32 v4, v22, v8
	v_add_f32_e32 v5, v26, v9
	ds_write2_b64 v39, v[4:5], v[0:1] offset0:120 offset1:150
	v_sub_f32_e32 v0, v24, v18
	v_sub_f32_e32 v1, v29, v19
	;; [unrolled: 1-line block ×4, first 2 shown]
	ds_write2_b64 v39, v[0:1], v[4:5] offset0:180 offset1:210
	v_sub_f32_e32 v1, v3, v36
	v_sub_f32_e32 v0, v2, v35
	;; [unrolled: 1-line block ×4, first 2 shown]
	v_add_nc_u32_e32 v4, 0x400, v39
	ds_write2_b64 v4, v[0:1], v[2:3] offset0:112 offset1:142
	v_lshlrev_b32_e32 v0, 4, v211
	buffer_store_dword v4, off, s[20:23], 0 offset:292 ; 4-byte Folded Spill
	s_waitcnt lgkmcnt(0)
	s_waitcnt_vscnt null, 0x0
	s_barrier
	buffer_gl0_inv
	v_add_co_u32 v202, s6, s10, v0
	v_add_co_ci_u32_e64 v204, null, s11, 0, s6
	v_lshlrev_b32_e32 v2, 4, v61
	v_add_co_u32 v0, vcc_lo, 0x800, v202
	v_add_co_ci_u32_e32 v1, vcc_lo, 0, v204, vcc_lo
	s_clause 0x1
	global_load_dwordx4 v[10:13], v[0:1], off offset:328
	global_load_dwordx4 v[33:36], v[0:1], off offset:1288
	ds_read2_b64 v[6:9], v199 offset0:132 offset1:222
	s_waitcnt vmcnt(1)
	buffer_store_dword v10, off, s[20:23], 0 offset:304 ; 4-byte Folded Spill
	buffer_store_dword v11, off, s[20:23], 0 offset:308 ; 4-byte Folded Spill
	;; [unrolled: 1-line block ×4, first 2 shown]
	v_add_co_u32 v198, s6, s10, v2
	v_lshlrev_b32_e32 v2, 4, v50
	v_add_co_ci_u32_e64 v200, null, s11, 0, s6
	v_lshrrev_b16 v4, 2, v58
	v_add_co_u32 v52, s6, s10, v2
	v_add_co_ci_u32_e64 v53, null, s11, 0, s6
	s_waitcnt lgkmcnt(0)
	v_mul_f32_e32 v0, v7, v11
	v_mul_f32_e32 v17, v6, v11
	v_fma_f32 v19, v6, v10, -v0
	v_add_co_u32 v0, vcc_lo, 0x800, v198
	v_add_co_ci_u32_e32 v1, vcc_lo, 0, v200, vcc_lo
	v_add_co_u32 v2, vcc_lo, 0x800, v52
	v_add_co_ci_u32_e32 v3, vcc_lo, 0, v53, vcc_lo
	s_clause 0x1
	global_load_dwordx4 v[219:222], v[0:1], off offset:328
	global_load_dwordx4 v[193:196], v[2:3], off offset:328
	v_fmac_f32_e32 v17, v7, v10
	v_lshrrev_b16 v2, 2, v64
	v_cmp_gt_u16_e32 vcc_lo, 30, v79
	s_waitcnt vmcnt(1)
	v_mul_f32_e32 v0, v9, v220
	v_mul_f32_e32 v22, v8, v220
	v_fma_f32 v21, v8, v219, -v0
	v_fmac_f32_e32 v22, v9, v219
	ds_read2_b64 v[6:9], v189 offset0:8 offset1:98
	s_waitcnt lgkmcnt(0)
	v_mul_f32_e32 v0, v7, v13
	v_mul_f32_e32 v18, v6, v13
	;; [unrolled: 1-line block ×3, first 2 shown]
	v_fma_f32 v20, v6, v12, -v0
	v_mov_b32_e32 v6, 0x6d3b
	v_mul_f32_e32 v0, v9, v222
	v_fmac_f32_e32 v18, v7, v12
	v_lshrrev_b16 v7, 2, v192
	v_fmac_f32_e32 v24, v9, v221
	v_mul_u32_u24_sdwa v2, v2, v6 dst_sel:DWORD dst_unused:UNUSED_PAD src0_sel:WORD_0 src1_sel:DWORD
	v_mul_u32_u24_sdwa v4, v4, v6 dst_sel:DWORD dst_unused:UNUSED_PAD src0_sel:WORD_0 src1_sel:DWORD
	v_fma_f32 v23, v8, v221, -v0
	v_lshrrev_b16 v8, 2, v28
	v_mul_u32_u24_sdwa v7, v7, v6 dst_sel:DWORD dst_unused:UNUSED_PAD src0_sel:WORD_0 src1_sel:DWORD
	v_lshrrev_b32_e32 v25, 21, v2
	v_lshrrev_b32_e32 v4, 21, v4
	v_add_co_u32 v0, s6, 0xffffffe2, v211
	v_mul_u32_u24_sdwa v6, v8, v6 dst_sel:DWORD dst_unused:UNUSED_PAD src0_sel:WORD_0 src1_sel:DWORD
	v_mul_lo_u16 v2, 0x12c, v25
	v_add_co_ci_u32_e64 v1, null, 0, -1, s6
	v_lshrrev_b32_e32 v7, 21, v7
	v_mul_lo_u16 v4, 0x12c, v4
	v_lshrrev_b32_e32 v6, 21, v6
	v_sub_nc_u16 v26, v64, v2
	v_cndmask_b32_e32 v15, v1, v63, vcc_lo
	v_cndmask_b32_e32 v14, v0, v77, vcc_lo
	v_mul_lo_u16 v7, 0x12c, v7
	v_sub_nc_u16 v27, v58, v4
	v_mul_lo_u16 v6, 0x12c, v6
	v_lshlrev_b16 v2, 4, v26
	v_lshlrev_b64 v[0:1], 4, v[14:15]
	v_sub_nc_u16 v29, v192, v7
	v_lshlrev_b16 v4, 4, v27
	v_sub_nc_u16 v30, v28, v6
	v_and_b32_e32 v2, 0xffff, v2
	v_sub_f32_e32 v31, v17, v18
	v_lshlrev_b16 v7, 4, v29
	v_add_co_u32 v0, vcc_lo, s10, v0
	v_and_b32_e32 v4, 0xffff, v4
	v_add_co_ci_u32_e32 v1, vcc_lo, s11, v1, vcc_lo
	v_lshlrev_b16 v6, 4, v30
	v_add_co_u32 v2, s6, s10, v2
	v_and_b32_e32 v7, 0xffff, v7
	v_add_co_u32 v0, vcc_lo, 0x800, v0
	v_add_co_ci_u32_e64 v3, null, s11, 0, s6
	v_add_co_u32 v4, s6, s10, v4
	v_add_co_ci_u32_e32 v1, vcc_lo, 0, v1, vcc_lo
	v_and_b32_e32 v6, 0xffff, v6
	v_add_co_u32 v2, vcc_lo, 0x800, v2
	v_add_co_ci_u32_e64 v5, null, s11, 0, s6
	v_add_co_u32 v7, s6, s10, v7
	v_add_co_ci_u32_e32 v3, vcc_lo, 0, v3, vcc_lo
	v_add_co_u32 v4, vcc_lo, 0x800, v4
	v_add_co_ci_u32_e64 v8, null, s11, 0, s6
	v_add_co_u32 v6, s6, s10, v6
	v_add_co_ci_u32_e32 v5, vcc_lo, 0, v5, vcc_lo
	v_add_co_u32 v10, vcc_lo, 0x800, v7
	v_add_co_ci_u32_e64 v7, null, s11, 0, s6
	v_add_co_ci_u32_e32 v11, vcc_lo, 0, v8, vcc_lo
	v_add_co_u32 v12, vcc_lo, 0x800, v6
	v_add_co_ci_u32_e32 v13, vcc_lo, 0, v7, vcc_lo
	ds_read2_b64 v[6:9], v229 offset1:90
	v_sub_f32_e32 v32, v19, v20
	v_mov_b32_e32 v63, v227
	s_waitcnt lgkmcnt(0)
	v_add_f32_e32 v16, v7, v17
	v_add_f32_e32 v15, v6, v19
	;; [unrolled: 1-line block ×6, first 2 shown]
	v_fma_f32 v18, -0.5, v18, v7
	v_fma_f32 v17, -0.5, v17, v6
	v_add_co_u32 v6, vcc_lo, 0x1000, v202
	v_add_co_ci_u32_e32 v7, vcc_lo, 0, v204, vcc_lo
	v_fmamk_f32 v19, v31, 0x3f5db3d7, v17
	v_fmamk_f32 v20, v32, 0xbf5db3d7, v18
	v_fmac_f32_e32 v17, 0xbf5db3d7, v31
	v_fmac_f32_e32 v18, 0x3f5db3d7, v32
	s_clause 0x5
	global_load_dwordx4 v[211:214], v[0:1], off offset:328
	global_load_dwordx4 v[215:218], v[6:7], off offset:680
	;; [unrolled: 1-line block ×6, first 2 shown]
	ds_read2_b64 v[65:68], v197 offset0:52 offset1:142
	ds_read2_b64 v[69:72], v235 offset0:56 offset1:146
	;; [unrolled: 1-line block ×12, first 2 shown]
	s_waitcnt vmcnt(0) lgkmcnt(0)
	s_waitcnt_vscnt null, 0x0
	s_barrier
	buffer_gl0_inv
	ds_write_b64 v229, v[17:18] offset:4800
	v_add_f32_e32 v17, v8, v21
	v_add_f32_e32 v18, v9, v22
	ds_write_b64 v229, v[19:20] offset:2400
	v_cmp_lt_u16_e32 vcc_lo, 29, v79
	v_add_f32_e32 v17, v17, v23
	v_add_f32_e32 v18, v18, v24
	ds_write2_b64 v229, v[15:16], v[17:18] offset1:90
	buffer_store_dword v193, off, s[20:23], 0 offset:348 ; 4-byte Folded Spill
	buffer_store_dword v194, off, s[20:23], 0 offset:352 ; 4-byte Folded Spill
	;; [unrolled: 1-line block ×4, first 2 shown]
	v_mul_f32_e32 v15, v70, v194
	v_mul_f32_e32 v17, v69, v194
	;; [unrolled: 1-line block ×3, first 2 shown]
	v_fma_f32 v19, v69, v193, -v15
	v_fmac_f32_e32 v17, v70, v193
	v_mul_f32_e32 v15, v74, v196
	v_fmac_f32_e32 v18, v74, v195
	v_add_f32_e32 v16, v66, v17
	v_fma_f32 v20, v73, v195, -v15
	v_add_f32_e32 v15, v65, v19
	v_add_f32_e32 v16, v16, v18
	;; [unrolled: 1-line block ×3, first 2 shown]
	ds_write_b64 v229, v[15:16] offset:1440
	v_add_f32_e32 v15, v21, v23
	v_sub_f32_e32 v16, v22, v24
	v_add_f32_e32 v22, v22, v24
	v_sub_f32_e32 v21, v21, v23
	v_sub_f32_e32 v23, v19, v20
	v_fma_f32 v8, -0.5, v15, v8
	v_mul_f32_e32 v24, v241, v216
	v_fmac_f32_e32 v9, -0.5, v22
	v_sub_f32_e32 v22, v17, v18
	v_fmamk_f32 v15, v16, 0x3f5db3d7, v8
	v_fmac_f32_e32 v8, 0xbf5db3d7, v16
	v_add_f32_e32 v16, v17, v18
	v_add_f32_e32 v17, v19, v20
	v_fmac_f32_e32 v24, v242, v215
	v_fma_f32 v18, -0.5, v16, v66
	v_fma_f32 v17, -0.5, v17, v65
	v_fmamk_f32 v16, v21, 0xbf5db3d7, v9
	v_fmac_f32_e32 v9, 0x3f5db3d7, v21
	v_fmamk_f32 v20, v23, 0xbf5db3d7, v18
	v_fmamk_f32 v19, v22, 0x3f5db3d7, v17
	v_fmac_f32_e32 v17, 0xbf5db3d7, v22
	v_fmac_f32_e32 v18, 0x3f5db3d7, v23
	v_mul_f32_e32 v23, v242, v216
	ds_write2_b64 v223, v[8:9], v[17:18] offset0:50 offset1:140
	buffer_store_dword v33, off, s[20:23], 0 offset:368 ; 4-byte Folded Spill
	buffer_store_dword v34, off, s[20:23], 0 offset:372 ; 4-byte Folded Spill
	;; [unrolled: 1-line block ×4, first 2 shown]
	v_mul_f32_e32 v8, v72, v212
	v_mul_f32_e32 v17, v76, v214
	;; [unrolled: 1-line block ×4, first 2 shown]
	v_fma_f32 v23, v241, v215, -v23
	v_fma_f32 v8, v71, v211, -v8
	;; [unrolled: 1-line block ×3, first 2 shown]
	v_fmac_f32_e32 v9, v72, v211
	v_fmac_f32_e32 v18, v76, v213
	v_mul_f32_e32 v21, v240, v34
	v_mul_f32_e32 v22, v239, v34
	;; [unrolled: 1-line block ×5, first 2 shown]
	v_fma_f32 v21, v239, v33, -v21
	v_fmac_f32_e32 v22, v240, v33
	v_mul_f32_e32 v33, v62, v218
	v_fma_f32 v31, v59, v35, -v31
	v_fmac_f32_e32 v32, v60, v35
	v_fmac_f32_e32 v34, v62, v217
	v_mul_f32_e32 v35, v55, v252
	v_fma_f32 v33, v61, v217, -v33
	v_mov_b32_e32 v62, v40
	v_mov_b32_e32 v61, v39
	;; [unrolled: 1-line block ×4, first 2 shown]
	buffer_store_dword v59, off, s[20:23], 0 offset:332 ; 4-byte Folded Spill
	buffer_store_dword v60, off, s[20:23], 0 offset:336 ; 4-byte Folded Spill
	;; [unrolled: 1-line block ×4, first 2 shown]
	v_fma_f32 v35, v54, v251, -v35
	v_mul_f32_e32 v36, v54, v252
	ds_write2_b64 v234, v[15:16], v[19:20] offset0:134 offset1:224
	v_add_f32_e32 v15, v188, v24
	v_sub_f32_e32 v16, v23, v33
	v_mul_f32_e32 v39, v246, v254
	v_fmac_f32_e32 v36, v55, v251
	v_mul_f32_e32 v40, v245, v254
	v_lshlrev_b32_sdwa v20, v206, v30 dst_sel:DWORD dst_unused:UNUSED_PAD src0_sel:DWORD src1_sel:WORD_0
	v_fma_f32 v39, v245, v253, -v39
	v_fmac_f32_e32 v40, v246, v253
	v_mul_f32_e32 v37, v57, v60
	v_mul_f32_e32 v38, v56, v60
	;; [unrolled: 1-line block ×4, first 2 shown]
	v_fma_f32 v37, v56, v59, -v37
	v_fmac_f32_e32 v38, v57, v59
	v_fma_f32 v41, v247, v61, -v41
	v_fmac_f32_e32 v42, v248, v61
	v_mov_b32_e32 v62, v46
	v_mov_b32_e32 v60, v44
	;; [unrolled: 1-line block ×4, first 2 shown]
	v_mul_f32_e32 v56, v6, v182
	v_mov_b32_e32 v45, v226
	v_mul_f32_e32 v43, v5, v60
	v_mul_f32_e32 v54, v4, v60
	v_mov_b32_e32 v46, v225
	v_fmac_f32_e32 v56, v7, v181
	v_mov_b32_e32 v44, v233
	v_fma_f32 v43, v4, v59, -v43
	v_mul_f32_e32 v4, v7, v182
	v_fmac_f32_e32 v54, v5, v59
	v_sub_f32_e32 v5, v9, v18
	v_add_f32_e32 v7, v68, v9
	v_fma_f32 v55, v6, v181, -v4
	v_cndmask_b32_e64 v4, 0, 0x384, vcc_lo
	v_add_f32_e32 v6, v67, v8
	v_add_f32_e32 v7, v7, v18
	;; [unrolled: 1-line block ×3, first 2 shown]
	v_add_lshl_u32 v14, v14, v4, 3
	v_add_f32_e32 v4, v8, v17
	v_sub_f32_e32 v8, v8, v17
	v_add_f32_e32 v6, v6, v17
	buffer_store_dword v14, off, s[20:23], 0 offset:264 ; 4-byte Folded Spill
	v_fma_f32 v67, -0.5, v4, v67
	v_fmamk_f32 v4, v5, 0x3f5db3d7, v67
	v_fmac_f32_e32 v67, 0xbf5db3d7, v5
	v_add_f32_e32 v5, v9, v18
	v_sub_f32_e32 v9, v24, v34
	v_fmac_f32_e32 v68, -0.5, v5
	v_fmamk_f32 v5, v8, 0xbf5db3d7, v68
	v_fmac_f32_e32 v68, 0x3f5db3d7, v8
	v_sub_f32_e32 v8, v21, v31
	ds_write_b64 v14, v[67:68] offset:4800
	ds_write_b64 v14, v[6:7]
	ds_write_b64 v14, v[4:5] offset:2400
	v_add_f32_e32 v4, v21, v31
	v_sub_f32_e32 v5, v22, v32
	v_add_f32_e32 v14, v187, v23
	v_fma_f32 v4, -0.5, v4, v185
	v_fmamk_f32 v6, v5, 0x3f5db3d7, v4
	v_fmac_f32_e32 v4, 0xbf5db3d7, v5
	v_add_f32_e32 v5, v22, v32
	v_fma_f32 v5, -0.5, v5, v186
	v_fmamk_f32 v7, v8, 0xbf5db3d7, v5
	v_fmac_f32_e32 v5, 0x3f5db3d7, v8
	;; [unrolled: 4-line block ×3, first 2 shown]
	v_add_f32_e32 v9, v24, v34
	v_fmac_f32_e32 v188, -0.5, v9
	v_fmamk_f32 v9, v16, 0xbf5db3d7, v188
	v_fmac_f32_e32 v188, 0x3f5db3d7, v16
	ds_write2_b64 v227, v[4:5], v[187:188] offset0:24 offset1:114
	buffer_store_dword v59, off, s[20:23], 0 offset:400 ; 4-byte Folded Spill
	buffer_store_dword v60, off, s[20:23], 0 offset:404 ; 4-byte Folded Spill
	;; [unrolled: 1-line block ×8, first 2 shown]
	v_add_f32_e32 v4, v185, v21
	v_add_f32_e32 v5, v186, v22
	v_lshlrev_b32_sdwa v21, v206, v27 dst_sel:DWORD dst_unused:UNUSED_PAD src0_sel:DWORD src1_sel:WORD_0
	v_lshlrev_b32_sdwa v22, v206, v29 dst_sel:DWORD dst_unused:UNUSED_PAD src0_sel:DWORD src1_sel:WORD_0
	v_add_f32_e32 v4, v4, v31
	v_add_f32_e32 v5, v5, v32
	v_mul_f32_e32 v16, v11, v62
	v_mul_f32_e32 v17, v10, v62
	v_mov_b32_e32 v62, v228
	v_fma_f32 v16, v10, v61, -v16
	v_mul_f32_e32 v10, v13, v184
	v_fmac_f32_e32 v17, v11, v61
	v_add_f32_e32 v11, v15, v34
	v_mov_b32_e32 v61, v223
	v_fma_f32 v18, v12, v183, -v10
	v_add_f32_e32 v10, v14, v33
	ds_write2_b64 v230, v[4:5], v[10:11] offset0:64 offset1:154
	ds_write2_b64 v179, v[6:7], v[8:9] offset0:108 offset1:198
	v_mad_u16 v6, 0x384, v25, v26
	v_add_f32_e32 v4, v48, v35
	v_add_f32_e32 v5, v49, v36
	v_sub_f32_e32 v8, v36, v40
	v_sub_f32_e32 v9, v35, v39
	v_lshlrev_b32_sdwa v10, v206, v6 dst_sel:DWORD dst_unused:UNUSED_PAD src0_sel:DWORD src1_sel:WORD_0
	v_add_f32_e32 v4, v4, v39
	v_add_f32_e32 v5, v5, v40
	;; [unrolled: 1-line block ×3, first 2 shown]
	v_mul_f32_e32 v12, v12, v184
	buffer_store_dword v10, off, s[20:23], 0 offset:272 ; 4-byte Folded Spill
	v_add_f32_e32 v14, v3, v56
	ds_write_b64 v10, v[4:5]
	v_add_f32_e32 v5, v36, v40
	v_add_f32_e32 v4, v35, v39
	v_fmac_f32_e32 v12, v13, v183
	v_sub_f32_e32 v13, v43, v16
	v_sub_f32_e32 v15, v55, v18
	v_fma_f32 v5, -0.5, v5, v49
	v_fma_f32 v4, -0.5, v4, v48
	buffer_store_dword v20, off, s[20:23], 0 offset:268 ; 4-byte Folded Spill
	buffer_store_dword v21, off, s[20:23], 0 offset:364 ; 4-byte Folded Spill
	v_fmamk_f32 v7, v9, 0xbf5db3d7, v5
	v_fmamk_f32 v6, v8, 0x3f5db3d7, v4
	v_fmac_f32_e32 v4, 0xbf5db3d7, v8
	v_fmac_f32_e32 v5, 0x3f5db3d7, v9
	ds_write_b64 v10, v[6:7] offset:2400
	v_sub_f32_e32 v6, v37, v41
	ds_write_b64 v10, v[4:5] offset:4800
	v_add_f32_e32 v4, v37, v41
	v_add_f32_e32 v10, v50, v37
	v_sub_f32_e32 v5, v38, v42
	v_sub_f32_e32 v7, v54, v17
	v_fma_f32 v50, -0.5, v4, v50
	v_fmamk_f32 v4, v5, 0x3f5db3d7, v50
	v_fmac_f32_e32 v50, 0xbf5db3d7, v5
	v_add_f32_e32 v5, v38, v42
	v_fmac_f32_e32 v51, -0.5, v5
	v_fmamk_f32 v5, v6, 0xbf5db3d7, v51
	v_fmac_f32_e32 v51, 0x3f5db3d7, v6
	v_add_f32_e32 v6, v43, v16
	ds_write_b64 v21, v[50:51] offset:19200
	v_fma_f32 v6, -0.5, v6, v0
	v_fmamk_f32 v8, v7, 0x3f5db3d7, v6
	v_fmac_f32_e32 v6, 0xbf5db3d7, v7
	v_add_f32_e32 v7, v54, v17
	v_fma_f32 v7, -0.5, v7, v1
	v_add_f32_e32 v1, v11, v42
	v_add_f32_e32 v11, v14, v12
	v_fmamk_f32 v9, v13, 0xbf5db3d7, v7
	v_fmac_f32_e32 v7, 0x3f5db3d7, v13
	v_add_f32_e32 v13, v2, v55
	ds_write_b64 v22, v[6:7] offset:19200
	v_add_f32_e32 v6, v55, v18
	v_sub_f32_e32 v7, v56, v12
	v_fma_f32 v2, -0.5, v6, v2
	v_fmamk_f32 v6, v7, 0x3f5db3d7, v2
	v_fmac_f32_e32 v2, 0xbf5db3d7, v7
	v_add_f32_e32 v7, v56, v12
	v_fmac_f32_e32 v3, -0.5, v7
	v_fmamk_f32 v7, v15, 0xbf5db3d7, v3
	v_fmac_f32_e32 v3, 0x3f5db3d7, v15
	v_add_f32_e32 v15, v0, v43
	v_add_f32_e32 v0, v10, v41
	;; [unrolled: 1-line block ×3, first 2 shown]
	ds_write_b64 v20, v[2:3] offset:19200
	v_add_f32_e32 v2, v15, v16
	v_add_f32_e32 v3, v19, v17
	ds_write_b64 v21, v[0:1] offset:14400
	ds_write_b64 v21, v[4:5] offset:16800
	v_add_co_u32 v0, vcc_lo, 0x1800, v202
	v_add_co_ci_u32_e32 v1, vcc_lo, 0, v204, vcc_lo
	buffer_store_dword v22, off, s[20:23], 0 offset:440 ; 4-byte Folded Spill
	ds_write_b64 v22, v[2:3] offset:14400
	ds_write_b64 v22, v[8:9] offset:16800
	;; [unrolled: 1-line block ×4, first 2 shown]
	v_add_co_u32 v2, vcc_lo, 0x1800, v198
	v_add_co_ci_u32_e32 v3, vcc_lo, 0, v200, vcc_lo
	s_waitcnt lgkmcnt(0)
	s_waitcnt_vscnt null, 0x0
	s_barrier
	buffer_gl0_inv
	s_clause 0x1
	global_load_dwordx4 v[239:242], v[0:1], off offset:1032
	global_load_dwordx4 v[6:9], v[2:3], off offset:1032
	s_waitcnt vmcnt(0)
	buffer_store_dword v6, off, s[20:23], 0 offset:276 ; 4-byte Folded Spill
	buffer_store_dword v7, off, s[20:23], 0 offset:280 ; 4-byte Folded Spill
	;; [unrolled: 1-line block ×4, first 2 shown]
	ds_read2_b64 v[0:3], v199 offset0:132 offset1:222
	ds_read2_b64 v[54:57], v229 offset1:90
	v_add_co_u32 v52, vcc_lo, 0x1800, v52
	v_add_co_ci_u32_e32 v53, vcc_lo, 0, v53, vcc_lo
	s_waitcnt lgkmcnt(1)
	v_mul_f32_e32 v4, v1, v240
	v_mul_f32_e32 v5, v0, v240
	v_fma_f32 v4, v0, v239, -v4
	v_fmac_f32_e32 v5, v1, v239
	v_mul_f32_e32 v0, v3, v7
	v_mul_f32_e32 v30, v2, v7
	v_fma_f32 v29, v2, v6, -v0
	v_fmac_f32_e32 v30, v3, v6
	ds_read2_b64 v[0:3], v189 offset0:8 offset1:98
	s_waitcnt lgkmcnt(0)
	v_mul_f32_e32 v6, v1, v242
	v_mul_f32_e32 v32, v2, v9
	v_fma_f32 v6, v0, v241, -v6
	v_mul_f32_e32 v0, v0, v242
	v_fmac_f32_e32 v32, v3, v8
	v_fmac_f32_e32 v0, v1, v241
	v_mul_f32_e32 v1, v3, v9
	v_sub_f32_e32 v7, v5, v0
	v_fma_f32 v31, v2, v8, -v1
	v_add_f32_e32 v1, v54, v4
	v_add_f32_e32 v2, v55, v5
	;; [unrolled: 1-line block ×7, first 2 shown]
	v_sub_f32_e32 v4, v4, v6
	v_fma_f32 v1, -0.5, v1, v55
	v_fma_f32 v0, -0.5, v0, v54
	v_fmamk_f32 v3, v4, 0xbf5db3d7, v1
	v_fmamk_f32 v2, v7, 0x3f5db3d7, v0
	v_fmac_f32_e32 v0, 0xbf5db3d7, v7
	v_fmac_f32_e32 v1, 0x3f5db3d7, v4
	ds_write_b64 v229, v[2:3] offset:7200
	ds_write_b64 v229, v[0:1] offset:14400
	v_add_f32_e32 v0, v56, v29
	v_fma_f32 v56, -0.5, v33, v56
	v_add_f32_e32 v33, v30, v32
	v_add_f32_e32 v1, v57, v30
	v_sub_f32_e32 v29, v29, v31
	v_add_f32_e32 v54, v0, v31
	ds_read2_b64 v[4:7], v197 offset0:52 offset1:142
	ds_read2_b64 v[8:11], v235 offset0:56 offset1:146
	;; [unrolled: 1-line block ×5, first 2 shown]
	v_fmac_f32_e32 v57, -0.5, v33
	v_add_f32_e32 v55, v1, v32
	ds_read2_b64 v[0:3], v226 offset0:112 offset1:202
	ds_read2_b64 v[12:15], v233 offset0:28 offset1:118
	ds_read2_b64 v[16:19], v228 offset0:160 offset1:250
	v_sub_f32_e32 v30, v30, v32
	v_fmamk_f32 v228, v29, 0xbf5db3d7, v57
	v_fmac_f32_e32 v57, 0x3f5db3d7, v29
	v_lshlrev_b32_e32 v29, 4, v77
	ds_read2_b64 v[20:23], v225 offset0:36 offset1:126
	ds_read2_b64 v[24:27], v223 offset0:80 offset1:170
	ds_read2_b64 v[202:205], v227 offset0:84 offset1:174
	ds_read2_b64 v[223:226], v177 offset0:88 offset1:178
	v_fmamk_f32 v227, v30, 0x3f5db3d7, v56
	v_fmac_f32_e32 v56, 0xbf5db3d7, v30
	v_add_co_u32 v29, s6, s10, v29
	v_add_co_ci_u32_e64 v30, null, s11, 0, s6
	ds_write2_b64 v229, v[59:60], v[54:55] offset1:90
	v_add_co_u32 v54, vcc_lo, 0x1800, v29
	v_add_co_ci_u32_e32 v55, vcc_lo, 0, v30, vcc_lo
	s_clause 0x1
	global_load_dwordx4 v[72:75], v[52:53], off offset:1032
	global_load_dwordx4 v[193:196], v[54:55], off offset:1032
	v_mov_b32_e32 v54, v235
	s_waitcnt vmcnt(1) lgkmcnt(11)
	v_mul_f32_e32 v29, v9, v73
	v_mul_f32_e32 v30, v8, v73
	s_waitcnt lgkmcnt(10)
	v_mul_f32_e32 v32, v48, v75
	s_waitcnt vmcnt(0)
	v_mul_f32_e32 v34, v10, v194
	v_mul_f32_e32 v36, v50, v196
	v_fma_f32 v29, v8, v72, -v29
	v_mul_f32_e32 v8, v49, v75
	v_fmac_f32_e32 v30, v9, v72
	v_fmac_f32_e32 v32, v49, v74
	;; [unrolled: 1-line block ×4, first 2 shown]
	v_fma_f32 v31, v48, v74, -v8
	v_add_nc_u32_e32 v48, 0x4400, v229
	v_sub_f32_e32 v9, v30, v32
	v_mov_b32_e32 v49, v63
	v_add_f32_e32 v8, v29, v31
	v_sub_f32_e32 v33, v29, v31
	v_add_f32_e32 v29, v4, v29
	v_mov_b32_e32 v201, v49
	v_fma_f32 v8, -0.5, v8, v4
	v_fmamk_f32 v230, v9, 0x3f5db3d7, v8
	v_fmac_f32_e32 v8, 0xbf5db3d7, v9
	v_add_f32_e32 v9, v30, v32
	v_add_f32_e32 v30, v5, v30
	v_fma_f32 v9, -0.5, v9, v5
	v_fmamk_f32 v231, v33, 0xbf5db3d7, v9
	v_fmac_f32_e32 v9, 0x3f5db3d7, v33
	ds_write2_b64 v189, v[56:57], v[8:9] offset0:98 offset1:188
	v_mul_f32_e32 v8, v11, v194
	v_mov_b32_e32 v57, v61
	v_fma_f32 v33, v10, v193, -v8
	v_mul_f32_e32 v8, v51, v196
	v_lshlrev_b32_e32 v10, 4, v78
	v_add_nc_u32_e32 v51, 0x2c00, v229
	v_fma_f32 v35, v50, v195, -v8
	v_lshlrev_b32_e32 v8, 4, v178
	v_mov_b32_e32 v178, v232
	v_add_co_u32 v8, s6, s10, v8
	v_add_co_ci_u32_e64 v9, null, s11, 0, s6
	v_add_co_u32 v10, s6, s10, v10
	v_add_co_u32 v8, vcc_lo, 0x1800, v8
	v_add_co_ci_u32_e64 v11, null, s11, 0, s6
	v_add_co_ci_u32_e32 v9, vcc_lo, 0, v9, vcc_lo
	v_add_co_u32 v10, vcc_lo, 0x1800, v10
	v_add_co_ci_u32_e32 v11, vcc_lo, 0, v11, vcc_lo
	s_clause 0x1
	global_load_dwordx4 v[76:79], v[8:9], off offset:1032
	global_load_dwordx4 v[181:184], v[10:11], off offset:1032
	s_waitcnt vmcnt(1) lgkmcnt(9)
	v_mul_f32_e32 v8, v66, v77
	s_waitcnt lgkmcnt(8)
	v_mul_f32_e32 v40, v0, v79
	s_waitcnt vmcnt(0)
	v_mul_f32_e32 v42, v2, v184
	v_mul_f32_e32 v38, v67, v182
	;; [unrolled: 1-line block ×3, first 2 shown]
	v_fma_f32 v10, v65, v76, -v8
	v_mul_f32_e32 v8, v68, v182
	v_fmac_f32_e32 v40, v1, v78
	v_fmac_f32_e32 v42, v3, v183
	;; [unrolled: 1-line block ×4, first 2 shown]
	v_fma_f32 v37, v67, v181, -v8
	v_mul_f32_e32 v8, v1, v79
	v_add_f32_e32 v206, v246, v11
	v_fma_f32 v39, v0, v78, -v8
	v_mul_f32_e32 v0, v3, v184
	v_fma_f32 v41, v2, v183, -v0
	v_lshlrev_b32_e32 v0, 4, v64
	v_lshlrev_b32_e32 v2, 4, v58
	v_sub_f32_e32 v4, v37, v41
	v_add_co_u32 v0, s6, s10, v0
	v_add_co_ci_u32_e64 v1, null, s11, 0, s6
	v_add_co_u32 v2, s6, s10, v2
	v_add_co_u32 v0, vcc_lo, 0x1800, v0
	v_add_co_ci_u32_e64 v3, null, s11, 0, s6
	v_add_co_ci_u32_e32 v1, vcc_lo, 0, v1, vcc_lo
	v_add_co_u32 v2, vcc_lo, 0x1800, v2
	v_add_co_ci_u32_e32 v3, vcc_lo, 0, v3, vcc_lo
	s_clause 0x1
	global_load_dwordx4 v[68:71], v[0:1], off offset:1032
	global_load_dwordx4 v[185:188], v[2:3], off offset:1032
	v_lshlrev_b32_e32 v2, 4, v28
	s_waitcnt vmcnt(1) lgkmcnt(6)
	v_mul_f32_e32 v0, v17, v69
	v_mul_f32_e32 v198, v16, v69
	v_fma_f32 v43, v16, v68, -v0
	s_waitcnt vmcnt(0)
	v_mul_f32_e32 v0, v19, v186
	v_fmac_f32_e32 v198, v17, v68
	v_mul_f32_e32 v17, v18, v186
	v_fma_f32 v16, v18, v185, -v0
	s_waitcnt lgkmcnt(5)
	v_mul_f32_e32 v0, v21, v71
	v_fmac_f32_e32 v17, v19, v185
	v_mul_f32_e32 v19, v20, v71
	v_fma_f32 v18, v20, v70, -v0
	v_mul_f32_e32 v0, v23, v188
	v_fmac_f32_e32 v19, v21, v70
	v_mul_f32_e32 v21, v22, v188
	v_fma_f32 v20, v22, v187, -v0
	v_lshlrev_b32_e32 v0, 4, v192
	v_fmac_f32_e32 v21, v23, v187
	v_sub_f32_e32 v5, v198, v19
	v_add_co_u32 v0, s6, s10, v0
	v_add_co_ci_u32_e64 v1, null, s11, 0, s6
	v_add_co_u32 v2, s6, s10, v2
	v_add_co_u32 v0, vcc_lo, 0x1800, v0
	v_add_co_ci_u32_e64 v3, null, s11, 0, s6
	v_add_co_ci_u32_e32 v1, vcc_lo, 0, v1, vcc_lo
	v_add_co_u32 v2, vcc_lo, 0x1800, v2
	v_add_co_ci_u32_e32 v3, vcc_lo, 0, v3, vcc_lo
	s_clause 0x1
	global_load_dwordx4 v[64:67], v[0:1], off offset:1032
	global_load_dwordx4 v[207:210], v[2:3], off offset:1032
	v_sub_f32_e32 v1, v34, v36
	v_sub_f32_e32 v2, v33, v35
	;; [unrolled: 1-line block ×3, first 2 shown]
	ds_write2_b64 v191, v[227:228], v[230:231] offset0:94 offset1:184
	s_mul_hi_u32 s6, s0, 0xffffca90
	s_sub_i32 s6, s6, s0
	s_waitcnt vmcnt(1) lgkmcnt(4)
	v_mul_f32_e32 v0, v203, v65
	v_mul_f32_e32 v23, v202, v65
	s_waitcnt vmcnt(0)
	v_mul_f32_e32 v192, v204, v208
	v_fma_f32 v22, v202, v64, -v0
	v_mul_f32_e32 v0, v205, v208
	v_fmac_f32_e32 v23, v203, v64
	v_fmac_f32_e32 v192, v205, v207
	v_add_f32_e32 v205, v6, v33
	s_waitcnt lgkmcnt(3)
	v_mul_f32_e32 v202, v223, v67
	v_fma_f32 v28, v204, v207, -v0
	v_mul_f32_e32 v0, v224, v67
	v_mul_f32_e32 v204, v225, v210
	v_fmac_f32_e32 v202, v224, v66
	v_add_f32_e32 v224, v15, v17
	v_fma_f32 v200, v223, v66, -v0
	v_mul_f32_e32 v0, v226, v210
	v_add_f32_e32 v223, v14, v16
	v_fmac_f32_e32 v204, v226, v209
	v_fma_f32 v203, v225, v209, -v0
	v_add_f32_e32 v0, v33, v35
	v_sub_f32_e32 v33, v10, v39
	v_sub_f32_e32 v225, v22, v200
	v_fma_f32 v6, -0.5, v0, v6
	v_fmamk_f32 v0, v1, 0x3f5db3d7, v6
	v_fmac_f32_e32 v6, 0xbf5db3d7, v1
	v_add_f32_e32 v1, v34, v36
	v_add_f32_e32 v34, v7, v34
	v_fmac_f32_e32 v7, -0.5, v1
	v_fmamk_f32 v1, v2, 0xbf5db3d7, v7
	v_fmac_f32_e32 v7, 0x3f5db3d7, v2
	v_add_f32_e32 v2, v10, v39
	v_fma_f32 v2, -0.5, v2, v245
	v_fmamk_f32 v8, v3, 0x3f5db3d7, v2
	v_fmac_f32_e32 v2, 0xbf5db3d7, v3
	v_add_f32_e32 v3, v11, v40
	v_sub_f32_e32 v11, v23, v202
	v_fma_f32 v3, -0.5, v3, v246
	v_fmamk_f32 v9, v33, 0xbf5db3d7, v3
	v_fmac_f32_e32 v3, 0x3f5db3d7, v33
	v_add_f32_e32 v33, v247, v37
	ds_write2_b64 v45, v[6:7], v[2:3] offset0:22 offset1:112
	v_add_f32_e32 v2, v37, v41
	v_sub_f32_e32 v3, v38, v42
	v_sub_f32_e32 v37, v43, v18
	v_fma_f32 v247, -0.5, v2, v247
	v_fmamk_f32 v2, v3, 0x3f5db3d7, v247
	v_fmac_f32_e32 v247, 0xbf5db3d7, v3
	v_add_f32_e32 v3, v38, v42
	v_add_f32_e32 v38, v248, v38
	v_fmac_f32_e32 v248, -0.5, v3
	v_fmamk_f32 v3, v4, 0xbf5db3d7, v248
	v_fmac_f32_e32 v248, 0x3f5db3d7, v4
	v_add_f32_e32 v4, v43, v18
	v_fma_f32 v4, -0.5, v4, v12
	v_fmamk_f32 v6, v5, 0x3f5db3d7, v4
	v_fmac_f32_e32 v4, 0xbf5db3d7, v5
	v_add_f32_e32 v5, v198, v19
	v_fma_f32 v5, -0.5, v5, v13
	v_fmamk_f32 v7, v37, 0xbf5db3d7, v5
	v_fmac_f32_e32 v5, 0x3f5db3d7, v37
	v_add_f32_e32 v37, v245, v10
	v_sub_f32_e32 v10, v16, v20
	ds_write2_b64 v48, v[247:248], v[4:5] offset0:74 offset1:164
	v_add_f32_e32 v4, v16, v20
	v_sub_f32_e32 v5, v17, v21
	v_fma_f32 v14, -0.5, v4, v14
	v_fmamk_f32 v4, v5, 0x3f5db3d7, v14
	v_fmac_f32_e32 v14, 0xbf5db3d7, v5
	v_add_f32_e32 v5, v17, v21
	v_fmac_f32_e32 v15, -0.5, v5
	v_fmamk_f32 v5, v10, 0xbf5db3d7, v15
	v_fmac_f32_e32 v15, 0x3f5db3d7, v10
	v_add_f32_e32 v10, v22, v200
	v_fma_f32 v10, -0.5, v10, v24
	v_fmamk_f32 v16, v11, 0x3f5db3d7, v10
	v_fmac_f32_e32 v10, 0xbf5db3d7, v11
	v_add_f32_e32 v11, v23, v202
	v_fma_f32 v11, -0.5, v11, v25
	v_fmamk_f32 v17, v225, 0xbf5db3d7, v11
	v_fmac_f32_e32 v11, 0x3f5db3d7, v225
	ds_write2_b64 v46, v[14:15], v[10:11] offset0:126 offset1:216
	v_add_f32_e32 v14, v12, v43
	v_add_f32_e32 v15, v13, v198
	;; [unrolled: 1-line block ×6, first 2 shown]
	ds_write2_b64 v197, v[10:11], v[12:13] offset0:52 offset1:142
	ds_write2_b64 v235, v[0:1], v[8:9] offset0:146 offset1:236
	v_add_f32_e32 v0, v37, v39
	v_add_f32_e32 v1, v206, v40
	;; [unrolled: 1-line block ×4, first 2 shown]
	ds_write2_b64 v234, v[0:1], v[8:9] offset0:104 offset1:194
	ds_write2_b64 v62, v[2:3], v[6:7] offset0:70 offset1:160
	v_add_f32_e32 v0, v14, v18
	v_add_f32_e32 v1, v15, v19
	;; [unrolled: 1-line block ×4, first 2 shown]
	ds_write2_b64 v51, v[4:5], v[16:17] offset0:122 offset1:212
	v_mov_b32_e32 v42, v46
	ds_write2_b64 v233, v[0:1], v[2:3] offset0:28 offset1:118
	v_add_f32_e32 v0, v24, v22
	v_add_f32_e32 v1, v25, v23
	;; [unrolled: 1-line block ×8, first 2 shown]
	ds_write2_b64 v61, v[0:1], v[2:3] offset0:80 offset1:170
	v_add_f32_e32 v0, v28, v203
	v_sub_f32_e32 v1, v192, v204
	v_sub_f32_e32 v2, v28, v203
	v_fma_f32 v26, -0.5, v0, v26
	v_add_f32_e32 v0, v192, v204
	v_fmac_f32_e32 v27, -0.5, v0
	v_fmamk_f32 v0, v1, 0x3f5db3d7, v26
	v_fmac_f32_e32 v26, 0xbf5db3d7, v1
	v_fmamk_f32 v1, v2, 0xbf5db3d7, v27
	v_fmac_f32_e32 v27, 0x3f5db3d7, v2
	ds_write_b64 v229, v[26:27] offset:20880
	ds_write_b64 v229, v[0:1] offset:13680
	v_add_co_u32 v0, vcc_lo, 0x5460, v176
	s_waitcnt lgkmcnt(0)
	s_waitcnt_vscnt null, 0x0
	s_barrier
	buffer_gl0_inv
	global_load_dwordx2 v[4:5], v[237:238], off offset:1120
	v_add_co_ci_u32_e32 v1, vcc_lo, 0, v180, vcc_lo
	s_clause 0x1
	global_load_dwordx2 v[6:7], v[0:1], off offset:720
	global_load_dwordx2 v[8:9], v[0:1], off offset:1440
	ds_read2_b64 v[0:3], v229 offset1:90
	s_waitcnt vmcnt(2) lgkmcnt(0)
	v_mul_f32_e32 v10, v1, v5
	v_mul_f32_e32 v11, v0, v5
	v_fma_f32 v10, v0, v4, -v10
	s_waitcnt vmcnt(1)
	v_mul_f32_e32 v0, v3, v7
	v_mul_f32_e32 v37, v2, v7
	v_fmac_f32_e32 v11, v1, v4
	v_fma_f32 v36, v2, v6, -v0
	v_fmac_f32_e32 v37, v3, v6
	v_add_co_u32 v6, vcc_lo, 0x7000, v176
	v_add_co_ci_u32_e32 v7, vcc_lo, 0, v180, vcc_lo
	ds_write_b64 v229, v[10:11]
	ds_read2_b64 v[0:3], v199 offset0:132 offset1:222
	global_load_dwordx2 v[10:11], v[6:7], off offset:128
	s_waitcnt vmcnt(0) lgkmcnt(0)
	v_mul_f32_e32 v4, v1, v11
	v_mul_f32_e32 v41, v0, v11
	v_fma_f32 v40, v0, v10, -v4
	v_fmac_f32_e32 v41, v1, v10
	v_add_co_u32 v10, vcc_lo, 0x8800, v176
	v_add_co_ci_u32_e32 v11, vcc_lo, 0, v180, vcc_lo
	s_clause 0x3
	global_load_dwordx2 v[0:1], v[6:7], off offset:848
	global_load_dwordx2 v[6:7], v[6:7], off offset:1568
	;; [unrolled: 1-line block ×4, first 2 shown]
	s_waitcnt vmcnt(3)
	v_mul_f32_e32 v4, v3, v1
	v_mul_f32_e32 v35, v2, v1
	v_fma_f32 v34, v2, v0, -v4
	v_fmac_f32_e32 v35, v3, v0
	ds_read2_b64 v[0:3], v189 offset0:8 offset1:98
	s_waitcnt vmcnt(0) lgkmcnt(0)
	v_mul_f32_e32 v4, v1, v19
	v_mul_f32_e32 v31, v0, v19
	v_fma_f32 v30, v0, v18, -v4
	v_fmac_f32_e32 v31, v1, v18
	global_load_dwordx2 v[0:1], v[10:11], off offset:1904
	v_add_co_u32 v10, vcc_lo, 0x9000, v176
	v_add_co_ci_u32_e32 v11, vcc_lo, 0, v180, vcc_lo
	s_clause 0x2
	global_load_dwordx2 v[18:19], v[10:11], off offset:576
	global_load_dwordx2 v[22:23], v[10:11], off offset:1296
	;; [unrolled: 1-line block ×3, first 2 shown]
	s_waitcnt vmcnt(3)
	v_mul_f32_e32 v4, v3, v1
	v_mul_f32_e32 v29, v2, v1
	v_fma_f32 v28, v2, v0, -v4
	v_fmac_f32_e32 v29, v3, v0
	ds_read2_b64 v[0:3], v197 offset0:52 offset1:142
	s_waitcnt lgkmcnt(0)
	v_mul_f32_e32 v4, v1, v9
	v_mul_f32_e32 v27, v0, v9
	v_fma_f32 v26, v0, v8, -v4
	v_add_co_u32 v0, vcc_lo, 0x5800, v176
	v_fmac_f32_e32 v27, v1, v8
	v_add_co_ci_u32_e32 v1, vcc_lo, 0, v180, vcc_lo
	v_add_co_u32 v8, vcc_lo, 0x7800, v176
	v_add_co_ci_u32_e32 v9, vcc_lo, 0, v180, vcc_lo
	s_clause 0x2
	global_load_dwordx2 v[202:203], v[0:1], off offset:1232
	global_load_dwordx2 v[204:205], v[8:9], off offset:960
	;; [unrolled: 1-line block ×3, first 2 shown]
	s_waitcnt vmcnt(2)
	v_mul_f32_e32 v0, v3, v203
	v_mul_f32_e32 v226, v2, v203
	v_fma_f32 v225, v2, v202, -v0
	v_fmac_f32_e32 v226, v3, v202
	ds_read2_b64 v[0:3], v235 offset0:56 offset1:146
	s_waitcnt lgkmcnt(0)
	v_mul_f32_e32 v4, v1, v7
	v_mul_f32_e32 v203, v0, v7
	v_fma_f32 v202, v0, v6, -v4
	v_fmac_f32_e32 v203, v1, v6
	global_load_dwordx2 v[0:1], v[8:9], off offset:240
	s_waitcnt vmcnt(0)
	v_mul_f32_e32 v4, v3, v1
	v_mul_f32_e32 v25, v2, v1
	v_fma_f32 v24, v2, v0, -v4
	v_fmac_f32_e32 v25, v3, v0
	ds_read2_b64 v[0:3], v232 offset0:60 offset1:150
	s_waitcnt lgkmcnt(0)
	v_mul_f32_e32 v4, v1, v19
	v_mul_f32_e32 v228, v0, v19
	;; [unrolled: 1-line block ×3, first 2 shown]
	v_fma_f32 v227, v0, v18, -v4
	v_mul_f32_e32 v0, v3, v23
	v_fmac_f32_e32 v228, v1, v18
	v_fmac_f32_e32 v21, v3, v22
	v_fma_f32 v20, v2, v22, -v0
	ds_read2_b64 v[0:3], v234 offset0:104 offset1:194
	s_waitcnt lgkmcnt(0)
	v_mul_f32_e32 v4, v1, v224
	v_mul_f32_e32 v23, v0, v224
	v_fma_f32 v22, v0, v223, -v4
	v_add_co_u32 v0, vcc_lo, 0x6000, v176
	v_fmac_f32_e32 v23, v1, v223
	v_add_co_ci_u32_e32 v1, vcc_lo, 0, v180, vcc_lo
	s_clause 0x2
	global_load_dwordx2 v[223:224], v[0:1], off offset:624
	global_load_dwordx2 v[230:231], v[0:1], off offset:1344
	;; [unrolled: 1-line block ×3, first 2 shown]
	s_waitcnt vmcnt(2)
	v_mul_f32_e32 v0, v3, v224
	v_mul_f32_e32 v238, v2, v224
	v_fma_f32 v237, v2, v223, -v0
	v_fmac_f32_e32 v238, v3, v223
	ds_read2_b64 v[0:3], v179 offset0:108 offset1:198
	s_waitcnt lgkmcnt(0)
	v_mul_f32_e32 v4, v1, v205
	v_mul_f32_e32 v224, v0, v205
	s_waitcnt vmcnt(0)
	v_mul_f32_e32 v205, v2, v9
	v_fma_f32 v223, v0, v204, -v4
	v_mul_f32_e32 v0, v3, v9
	v_fmac_f32_e32 v224, v1, v204
	v_fmac_f32_e32 v205, v3, v8
	v_fma_f32 v204, v2, v8, -v0
	ds_read2_b64 v[0:3], v45 offset0:112 offset1:202
	s_waitcnt lgkmcnt(0)
	v_mul_f32_e32 v4, v1, v11
	v_mul_f32_e32 v19, v0, v11
	v_fma_f32 v18, v0, v10, -v4
	v_fmac_f32_e32 v19, v1, v10
	v_add_co_u32 v10, vcc_lo, 0x9800, v176
	v_add_co_ci_u32_e32 v11, vcc_lo, 0, v180, vcc_lo
	global_load_dwordx2 v[0:1], v[10:11], off offset:688
	s_waitcnt vmcnt(0)
	v_mul_f32_e32 v4, v3, v1
	v_mul_f32_e32 v246, v2, v1
	v_fma_f32 v245, v2, v0, -v4
	v_fmac_f32_e32 v246, v3, v0
	ds_read2_b64 v[0:3], v233 offset0:28 offset1:118
	s_waitcnt lgkmcnt(0)
	v_mul_f32_e32 v4, v1, v231
	v_mul_f32_e32 v248, v0, v231
	v_fma_f32 v247, v0, v230, -v4
	v_add_co_u32 v0, vcc_lo, 0x6800, v176
	v_fmac_f32_e32 v248, v1, v230
	v_add_co_ci_u32_e32 v1, vcc_lo, 0, v180, vcc_lo
	s_clause 0x2
	global_load_dwordx2 v[230:231], v[0:1], off offset:16
	global_load_dwordx2 v[232:233], v[0:1], off offset:736
	;; [unrolled: 1-line block ×3, first 2 shown]
	s_waitcnt vmcnt(2)
	v_mul_f32_e32 v0, v3, v231
	v_mul_f32_e32 v17, v2, v231
	v_fma_f32 v16, v2, v230, -v0
	v_add_co_u32 v0, vcc_lo, 0x8000, v176
	v_add_co_ci_u32_e32 v1, vcc_lo, 0, v180, vcc_lo
	v_fmac_f32_e32 v17, v3, v230
	s_clause 0x3
	global_load_dwordx2 v[230:231], v[0:1], off offset:352
	global_load_dwordx2 v[4:5], v[0:1], off offset:1072
	;; [unrolled: 1-line block ×4, first 2 shown]
	ds_read2_b64 v[0:3], v62 offset0:160 offset1:250
	s_waitcnt vmcnt(3) lgkmcnt(0)
	v_mul_f32_e32 v8, v1, v231
	v_mul_f32_e32 v15, v0, v231
	s_waitcnt vmcnt(2)
	v_mul_f32_e32 v231, v2, v5
	v_fma_f32 v14, v0, v230, -v8
	v_mul_f32_e32 v0, v3, v5
	v_fmac_f32_e32 v15, v1, v230
	v_fmac_f32_e32 v231, v3, v4
	v_fma_f32 v230, v2, v4, -v0
	ds_read2_b64 v[0:3], v46 offset0:36 offset1:126
	v_mov_b32_e32 v46, v177
	s_waitcnt vmcnt(0) lgkmcnt(0)
	v_mul_f32_e32 v4, v1, v11
	v_mul_f32_e32 v13, v0, v11
	v_fma_f32 v12, v0, v10, -v4
	v_fmac_f32_e32 v13, v1, v10
	v_add_co_u32 v10, vcc_lo, 0xa000, v176
	v_add_co_ci_u32_e32 v11, vcc_lo, 0, v180, vcc_lo
	global_load_dwordx2 v[0:1], v[10:11], off offset:80
	s_waitcnt vmcnt(0)
	v_mul_f32_e32 v4, v3, v1
	v_mul_f32_e32 v9, v2, v1
	v_fma_f32 v8, v2, v0, -v4
	v_fmac_f32_e32 v9, v3, v0
	ds_read2_b64 v[0:3], v61 offset0:80 offset1:170
	v_mov_b32_e32 v61, v42
	s_waitcnt lgkmcnt(0)
	v_mul_f32_e32 v4, v1, v233
	v_mul_f32_e32 v39, v0, v233
	;; [unrolled: 1-line block ×3, first 2 shown]
	v_fma_f32 v38, v0, v232, -v4
	v_mul_f32_e32 v0, v3, v235
	v_fmac_f32_e32 v39, v1, v232
	v_fmac_f32_e32 v233, v3, v234
	v_fma_f32 v232, v2, v234, -v0
	ds_read2_b64 v[0:3], v63 offset0:84 offset1:174
	v_mov_b32_e32 v63, v57
	s_waitcnt lgkmcnt(0)
	v_mul_f32_e32 v4, v1, v7
	v_mul_f32_e32 v235, v0, v7
	;; [unrolled: 1-line block ×3, first 2 shown]
	v_fma_f32 v234, v0, v6, -v4
	v_mul_f32_e32 v0, v3, v33
	v_fmac_f32_e32 v235, v1, v6
	v_fmac_f32_e32 v7, v3, v32
	v_fma_f32 v6, v2, v32, -v0
	s_clause 0x1
	global_load_dwordx2 v[32:33], v[10:11], off offset:800
	global_load_dwordx2 v[10:11], v[10:11], off offset:1520
	ds_read2_b64 v[0:3], v177 offset0:88 offset1:178
	v_mov_b32_e32 v177, v45
	s_waitcnt vmcnt(1) lgkmcnt(0)
	v_mul_f32_e32 v4, v1, v33
	v_mul_f32_e32 v5, v0, v33
	v_fma_f32 v4, v0, v32, -v4
	s_waitcnt vmcnt(0)
	v_mul_f32_e32 v0, v3, v11
	v_fmac_f32_e32 v5, v1, v32
	v_mul_f32_e32 v1, v2, v11
	v_fma_f32 v0, v2, v10, -v0
	v_add_nc_u32_e32 v2, 0xc00, v229
	v_fmac_f32_e32 v1, v3, v10
	ds_write2_b64 v2, v[237:238], v[247:248] offset0:66 offset1:156
	v_add_nc_u32_e32 v2, 0x3400, v229
	ds_write2_b64 v2, v[6:7], v[30:31] offset0:46 offset1:136
	ds_write2_b64 v229, v[36:37], v[26:27] offset0:90 offset1:180
	;; [unrolled: 1-line block ×13, first 2 shown]
	ds_write_b64 v229, v[0:1] offset:20880
	s_waitcnt lgkmcnt(0)
	s_barrier
	buffer_gl0_inv
	ds_read2_b64 v[0:3], v229 offset1:90
	ds_read2_b64 v[4:7], v199 offset0:132 offset1:222
	ds_read2_b64 v[8:11], v189 offset0:8 offset1:98
	v_mov_b32_e32 v23, v44
	v_mov_b32_e32 v191, v54
	;; [unrolled: 1-line block ×3, first 2 shown]
	s_waitcnt lgkmcnt(1)
	v_add_f32_e32 v12, v0, v4
	s_waitcnt lgkmcnt(0)
	v_add_f32_e32 v176, v4, v8
	v_sub_f32_e32 v180, v5, v9
	v_add_f32_e32 v13, v1, v5
	v_add_f32_e32 v192, v5, v9
	v_sub_f32_e32 v198, v4, v8
	v_add_f32_e32 v4, v2, v6
	v_add_f32_e32 v5, v3, v7
	;; [unrolled: 1-line block ×3, first 2 shown]
	v_sub_f32_e32 v44, v7, v11
	v_add_f32_e32 v60, v7, v11
	v_sub_f32_e32 v204, v6, v10
	v_add_f32_e32 v202, v12, v8
	v_add_f32_e32 v203, v13, v9
	;; [unrolled: 1-line block ×4, first 2 shown]
	ds_read2_b64 v[4:7], v197 offset0:52 offset1:142
	ds_read2_b64 v[8:11], v54 offset0:56 offset1:146
	;; [unrolled: 1-line block ×3, first 2 shown]
	v_fma_f32 v0, -0.5, v176, v0
	v_fma_f32 v1, -0.5, v192, v1
	;; [unrolled: 1-line block ×3, first 2 shown]
	v_fmac_f32_e32 v3, -0.5, v60
	s_waitcnt lgkmcnt(1)
	v_add_f32_e32 v16, v4, v8
	s_waitcnt lgkmcnt(0)
	v_add_f32_e32 v205, v8, v12
	v_sub_f32_e32 v206, v9, v13
	v_add_f32_e32 v17, v5, v9
	v_add_f32_e32 v223, v9, v13
	v_sub_f32_e32 v224, v8, v12
	v_add_f32_e32 v8, v6, v10
	v_add_f32_e32 v9, v7, v11
	v_add_f32_e32 v225, v10, v14
	v_sub_f32_e32 v226, v11, v15
	v_add_f32_e32 v227, v11, v15
	v_sub_f32_e32 v228, v10, v14
	v_add_f32_e32 v32, v16, v12
	v_add_f32_e32 v33, v17, v13
	;; [unrolled: 1-line block ×4, first 2 shown]
	ds_read2_b64 v[8:11], v255 offset0:104 offset1:194
	ds_read2_b64 v[12:15], v179 offset0:108 offset1:198
	;; [unrolled: 1-line block ×3, first 2 shown]
	v_fma_f32 v6, -0.5, v225, v6
	v_fmac_f32_e32 v7, -0.5, v227
	v_mov_b32_e32 v225, v62
	s_waitcnt lgkmcnt(1)
	v_add_f32_e32 v20, v8, v12
	s_waitcnt lgkmcnt(0)
	v_add_f32_e32 v230, v12, v16
	v_sub_f32_e32 v231, v13, v17
	v_add_f32_e32 v21, v9, v13
	v_add_f32_e32 v232, v13, v17
	v_sub_f32_e32 v233, v12, v16
	v_add_f32_e32 v12, v10, v14
	v_add_f32_e32 v13, v11, v15
	;; [unrolled: 1-line block ×3, first 2 shown]
	v_sub_f32_e32 v235, v15, v19
	v_add_f32_e32 v237, v15, v19
	v_sub_f32_e32 v238, v14, v18
	v_add_f32_e32 v36, v20, v16
	v_add_f32_e32 v37, v21, v17
	v_add_f32_e32 v38, v12, v18
	v_add_f32_e32 v39, v13, v19
	ds_read2_b64 v[12:15], v23 offset0:28 offset1:118
	ds_read2_b64 v[16:19], v62 offset0:160 offset1:250
	;; [unrolled: 1-line block ×3, first 2 shown]
	v_fma_f32 v10, -0.5, v234, v10
	v_fmac_f32_e32 v11, -0.5, v237
	s_waitcnt lgkmcnt(1)
	v_add_f32_e32 v24, v12, v16
	s_waitcnt lgkmcnt(0)
	v_add_f32_e32 v245, v16, v20
	v_sub_f32_e32 v246, v17, v21
	v_add_f32_e32 v25, v13, v17
	v_add_f32_e32 v247, v17, v21
	v_sub_f32_e32 v248, v16, v20
	v_add_f32_e32 v16, v14, v18
	v_add_f32_e32 v17, v15, v19
	;; [unrolled: 1-line block ×3, first 2 shown]
	v_sub_f32_e32 v45, v19, v23
	v_add_f32_e32 v52, v19, v23
	v_sub_f32_e32 v47, v18, v22
	v_add_f32_e32 v40, v24, v20
	v_add_f32_e32 v41, v25, v21
	;; [unrolled: 1-line block ×4, first 2 shown]
	ds_read2_b64 v[16:19], v57 offset0:80 offset1:170
	ds_read2_b64 v[20:23], v49 offset0:84 offset1:174
	;; [unrolled: 1-line block ×3, first 2 shown]
	s_waitcnt lgkmcnt(0)
	s_barrier
	buffer_gl0_inv
	v_fma_f32 v14, -0.5, v56, v14
	v_fmac_f32_e32 v15, -0.5, v52
	v_add_f32_e32 v54, v18, v22
	v_add_f32_e32 v55, v22, v26
	v_sub_f32_e32 v59, v22, v26
	v_add_f32_e32 v28, v16, v20
	v_add_f32_e32 v51, v17, v21
	;; [unrolled: 1-line block ×3, first 2 shown]
	buffer_load_dword v26, off, s[20:23], 0 offset:252 ; 4-byte Folded Reload
	v_add_f32_e32 v49, v20, v24
	v_sub_f32_e32 v50, v21, v25
	v_add_f32_e32 v48, v21, v25
	v_sub_f32_e32 v53, v20, v24
	v_add_f32_e32 v20, v28, v24
	v_add_f32_e32 v21, v51, v25
	v_fmamk_f32 v24, v180, 0xbf5db3d7, v0
	v_fmamk_f32 v25, v198, 0x3f5db3d7, v1
	v_fmac_f32_e32 v0, 0x3f5db3d7, v180
	v_fmac_f32_e32 v1, 0xbf5db3d7, v198
	v_add_f32_e32 v58, v23, v27
	v_sub_f32_e32 v29, v23, v27
	v_add_f32_e32 v57, v19, v23
	v_fma_f32 v18, -0.5, v55, v18
	v_fmac_f32_e32 v19, -0.5, v58
	v_add_f32_e32 v23, v57, v27
	s_waitcnt vmcnt(0)
	ds_write2_b64 v26, v[202:203], v[24:25] offset1:1
	buffer_load_dword v24, off, s[20:23], 0 offset:256 ; 4-byte Folded Reload
	ds_write_b64 v26, v[0:1] offset:16
	v_fmamk_f32 v0, v44, 0xbf5db3d7, v2
	v_fmamk_f32 v1, v204, 0x3f5db3d7, v3
	v_fmac_f32_e32 v2, 0x3f5db3d7, v44
	v_fmac_f32_e32 v3, 0xbf5db3d7, v204
	v_mov_b32_e32 v203, v46
	s_waitcnt vmcnt(0)
	ds_write2_b64 v24, v[30:31], v[0:1] offset1:1
	v_fma_f32 v0, -0.5, v205, v4
	buffer_load_dword v4, off, s[20:23], 0 offset:260 ; 4-byte Folded Reload
	v_fma_f32 v1, -0.5, v223, v5
	ds_write_b64 v24, v[2:3] offset:16
	v_mov_b32_e32 v205, v190
	v_fmamk_f32 v2, v206, 0xbf5db3d7, v0
	v_fmac_f32_e32 v0, 0x3f5db3d7, v206
	v_fmamk_f32 v3, v224, 0x3f5db3d7, v1
	v_fmac_f32_e32 v1, 0xbf5db3d7, v224
	v_mov_b32_e32 v224, v177
	s_waitcnt vmcnt(0)
	ds_write2_b64 v4, v[32:33], v[2:3] offset1:1
	buffer_load_dword v2, off, s[20:23], 0 offset:472 ; 4-byte Folded Reload
	ds_write_b64 v4, v[0:1] offset:16
	buffer_load_dword v4, off, s[20:23], 0 offset:468 ; 4-byte Folded Reload
	v_fmamk_f32 v0, v226, 0xbf5db3d7, v6
	v_fmamk_f32 v1, v228, 0x3f5db3d7, v7
	v_fmac_f32_e32 v6, 0x3f5db3d7, v226
	v_fmac_f32_e32 v7, 0xbf5db3d7, v228
	v_mov_b32_e32 v226, v61
	s_waitcnt vmcnt(1)
	ds_write2_b64 v2, v[34:35], v[0:1] offset1:1
	v_fma_f32 v0, -0.5, v230, v8
	v_fma_f32 v1, -0.5, v232, v9
	ds_write_b64 v2, v[6:7] offset:16
	v_fmamk_f32 v2, v231, 0xbf5db3d7, v0
	v_fmamk_f32 v3, v233, 0x3f5db3d7, v1
	v_fmac_f32_e32 v0, 0x3f5db3d7, v231
	v_fmac_f32_e32 v1, 0xbf5db3d7, v233
	s_waitcnt vmcnt(0)
	ds_write2_b64 v4, v[36:37], v[2:3] offset1:1
	buffer_load_dword v2, off, s[20:23], 0 offset:464 ; 4-byte Folded Reload
	ds_write_b64 v4, v[0:1] offset:16
	buffer_load_dword v4, off, s[20:23], 0 offset:460 ; 4-byte Folded Reload
	v_fmamk_f32 v0, v235, 0xbf5db3d7, v10
	v_fmamk_f32 v1, v238, 0x3f5db3d7, v11
	v_fmac_f32_e32 v10, 0x3f5db3d7, v235
	v_fmac_f32_e32 v11, 0xbf5db3d7, v238
	s_waitcnt vmcnt(1)
	ds_write2_b64 v2, v[38:39], v[0:1] offset1:1
	v_fma_f32 v0, -0.5, v245, v12
	v_fma_f32 v1, -0.5, v247, v13
	ds_write_b64 v2, v[10:11] offset:16
	v_fmamk_f32 v2, v246, 0xbf5db3d7, v0
	v_fmamk_f32 v3, v248, 0x3f5db3d7, v1
	v_fmac_f32_e32 v0, 0x3f5db3d7, v246
	v_fmac_f32_e32 v1, 0xbf5db3d7, v248
	s_waitcnt vmcnt(0)
	ds_write2_b64 v4, v[40:41], v[2:3] offset1:1
	buffer_load_dword v2, off, s[20:23], 0 offset:456 ; 4-byte Folded Reload
	ds_write_b64 v4, v[0:1] offset:16
	buffer_load_dword v4, off, s[20:23], 0 offset:476 ; 4-byte Folded Reload
	v_fmamk_f32 v0, v45, 0xbf5db3d7, v14
	v_fmamk_f32 v1, v47, 0x3f5db3d7, v15
	v_fmac_f32_e32 v14, 0x3f5db3d7, v45
	v_fmac_f32_e32 v15, 0xbf5db3d7, v47
	s_waitcnt vmcnt(1)
	ds_write2_b64 v2, v[42:43], v[0:1] offset1:1
	v_fma_f32 v0, -0.5, v49, v16
	v_fma_f32 v1, -0.5, v48, v17
	ds_write_b64 v2, v[14:15] offset:16
	v_fmamk_f32 v2, v50, 0xbf5db3d7, v0
	v_fmamk_f32 v3, v53, 0x3f5db3d7, v1
	v_fmac_f32_e32 v0, 0x3f5db3d7, v50
	v_fmac_f32_e32 v1, 0xbf5db3d7, v53
	s_waitcnt vmcnt(0)
	ds_write2_b64 v4, v[20:21], v[2:3] offset1:1
	buffer_load_dword v2, off, s[20:23], 0 offset:452 ; 4-byte Folded Reload
	ds_write_b64 v4, v[0:1] offset:16
	v_fmamk_f32 v0, v29, 0xbf5db3d7, v18
	v_fmamk_f32 v1, v59, 0x3f5db3d7, v19
	v_fmac_f32_e32 v18, 0x3f5db3d7, v29
	v_fmac_f32_e32 v19, 0xbf5db3d7, v59
	s_waitcnt vmcnt(0)
	ds_write2_b64 v2, v[22:23], v[0:1] offset1:1
	ds_write_b64 v2, v[18:19] offset:16
	s_waitcnt lgkmcnt(0)
	s_barrier
	buffer_gl0_inv
	ds_read2_b64 v[0:3], v46 offset0:88 offset1:178
	s_waitcnt lgkmcnt(0)
	v_mul_f32_e32 v176, v244, v1
	v_mul_f32_e32 v180, v250, v3
	v_fmac_f32_e32 v176, v243, v0
	v_mul_f32_e32 v0, v244, v0
	v_fmac_f32_e32 v180, v249, v2
	v_fma_f32 v238, v243, v1, -v0
	v_mul_f32_e32 v0, v250, v2
	v_fma_f32 v247, v249, v3, -v0
	ds_read2_b64 v[0:3], v61 offset0:36 offset1:126
	s_clause 0x1
	buffer_load_dword v4, off, s[20:23], 0 offset:444
	buffer_load_dword v5, off, s[20:23], 0 offset:448
	s_waitcnt lgkmcnt(0)
	v_mul_f32_e32 v237, v175, v1
	v_fmac_f32_e32 v237, v174, v0
	v_mul_f32_e32 v0, v175, v0
	v_fma_f32 v175, v174, v1, -v0
	s_waitcnt vmcnt(0)
	v_mul_f32_e32 v248, v5, v3
	v_fmac_f32_e32 v248, v4, v2
	v_mul_f32_e32 v2, v5, v2
	v_fma_f32 v246, v4, v3, -v2
	ds_read2_b64 v[0:3], v178 offset0:60 offset1:150
	ds_read2_b64 v[4:7], v189 offset0:8 offset1:98
	s_waitcnt lgkmcnt(1)
	v_mul_f32_e32 v174, v173, v3
	s_waitcnt lgkmcnt(0)
	v_mul_f32_e32 v250, v157, v7
	v_fmac_f32_e32 v174, v172, v2
	v_mul_f32_e32 v2, v173, v2
	v_mul_f32_e32 v173, v165, v1
	v_fmac_f32_e32 v250, v156, v6
	v_fma_f32 v172, v172, v3, -v2
	v_fmac_f32_e32 v173, v164, v0
	v_mul_f32_e32 v0, v165, v0
	v_fma_f32 v164, v164, v1, -v0
	ds_read2_b64 v[0:3], v177 offset0:112 offset1:202
	s_waitcnt lgkmcnt(0)
	v_mul_f32_e32 v245, v167, v3
	v_fmac_f32_e32 v245, v166, v2
	v_mul_f32_e32 v2, v167, v2
	v_fma_f32 v165, v166, v3, -v2
	v_mul_f32_e32 v3, v159, v1
	v_fmac_f32_e32 v3, v158, v0
	v_mul_f32_e32 v0, v159, v0
	v_mul_f32_e32 v159, v171, v5
	v_fma_f32 v158, v158, v1, -v0
	v_mul_f32_e32 v0, v157, v6
	v_fmac_f32_e32 v159, v170, v4
	v_fma_f32 v249, v156, v7, -v0
	v_mul_f32_e32 v0, v171, v4
	v_fma_f32 v170, v170, v5, -v0
	ds_read2_b64 v[4:7], v62 offset0:160 offset1:250
	s_waitcnt lgkmcnt(0)
	v_mul_f32_e32 v0, v169, v6
	v_mul_f32_e32 v157, v169, v7
	;; [unrolled: 1-line block ×3, first 2 shown]
	v_fma_f32 v156, v168, v7, -v0
	v_mul_f32_e32 v0, v153, v4
	v_fmac_f32_e32 v157, v168, v6
	v_fmac_f32_e32 v166, v152, v4
	v_fma_f32 v152, v152, v5, -v0
	ds_read2_b64 v[4:7], v201 offset0:84 offset1:174
	s_waitcnt lgkmcnt(0)
	v_mul_f32_e32 v0, v155, v6
	v_mul_f32_e32 v167, v155, v7
	;; [unrolled: 1-line block ×3, first 2 shown]
	v_fma_f32 v153, v154, v7, -v0
	v_mul_f32_e32 v0, v147, v4
	v_fmac_f32_e32 v167, v154, v6
	v_fmac_f32_e32 v171, v146, v4
	v_fma_f32 v169, v146, v5, -v0
	ds_read2_b64 v[4:7], v179 offset0:108 offset1:198
	v_sub_f32_e32 v1, v3, v171
	s_waitcnt lgkmcnt(0)
	v_mul_f32_e32 v0, v145, v6
	v_mul_f32_e32 v168, v145, v7
	;; [unrolled: 1-line block ×3, first 2 shown]
	v_fma_f32 v11, v144, v7, -v0
	v_mul_f32_e32 v0, v163, v4
	v_fmac_f32_e32 v168, v144, v6
	v_fmac_f32_e32 v147, v162, v4
	v_sub_f32_e32 v9, v11, v249
	v_fma_f32 v146, v162, v5, -v0
	ds_read2_b64 v[4:7], v199 offset0:132 offset1:222
	v_sub_f32_e32 v10, v168, v250
	s_waitcnt lgkmcnt(0)
	v_mul_f32_e32 v0, v161, v6
	v_mul_f32_e32 v145, v161, v7
	;; [unrolled: 1-line block ×3, first 2 shown]
	v_fma_f32 v144, v160, v7, -v0
	v_mul_f32_e32 v0, v141, v4
	v_fmac_f32_e32 v145, v160, v6
	v_fmac_f32_e32 v154, v140, v4
	v_fma_f32 v140, v140, v5, -v0
	ds_read2_b64 v[4:7], v191 offset0:56 offset1:146
	s_waitcnt lgkmcnt(0)
	v_mul_f32_e32 v0, v143, v6
	v_mul_f32_e32 v155, v143, v7
	v_mul_f32_e32 v163, v139, v5
	v_fma_f32 v143, v142, v7, -v0
	v_mul_f32_e32 v0, v139, v4
	v_fmac_f32_e32 v155, v142, v6
	v_fmac_f32_e32 v163, v138, v4
	v_fma_f32 v162, v138, v5, -v0
	ds_read2_b64 v[4:7], v63 offset0:80 offset1:170
	v_sub_f32_e32 v18, v163, v171
	v_add_f32_e32 v15, v162, v169
	s_waitcnt lgkmcnt(0)
	v_mul_f32_e32 v0, v137, v6
	v_mul_f32_e32 v161, v137, v7
	;; [unrolled: 1-line block ×3, first 2 shown]
	v_fma_f32 v160, v136, v7, -v0
	v_mul_f32_e32 v0, v151, v4
	v_fmac_f32_e32 v161, v136, v6
	v_fmac_f32_e32 v138, v150, v4
	v_sub_f32_e32 v198, v160, v246
	v_fma_f32 v139, v150, v5, -v0
	ds_read2_b64 v[4:7], v255 offset0:104 offset1:194
	v_sub_f32_e32 v8, v161, v248
	s_waitcnt lgkmcnt(0)
	v_mul_f32_e32 v0, v149, v6
	v_mul_f32_e32 v136, v149, v7
	;; [unrolled: 1-line block ×3, first 2 shown]
	v_fma_f32 v137, v148, v7, -v0
	v_mul_f32_e32 v0, v133, v4
	v_fmac_f32_e32 v136, v148, v6
	v_fmac_f32_e32 v141, v132, v4
	v_fma_f32 v142, v132, v5, -v0
	ds_read2_b64 v[4:7], v190 offset0:28 offset1:118
	s_waitcnt lgkmcnt(0)
	v_mul_f32_e32 v0, v135, v6
	v_mul_f32_e32 v190, v131, v5
	;; [unrolled: 1-line block ×3, first 2 shown]
	v_fma_f32 v149, v134, v7, -v0
	v_mul_f32_e32 v0, v131, v4
	v_fmac_f32_e32 v190, v130, v4
	v_fmac_f32_e32 v148, v134, v6
	v_sub_f32_e32 v6, v162, v169
	v_fma_f32 v7, v130, v5, -v0
	ds_read2_b64 v[130:133], v197 offset0:52 offset1:142
	v_sub_f32_e32 v17, v190, v3
	v_sub_f32_e32 v206, v7, v158
	s_waitcnt lgkmcnt(0)
	v_mul_f32_e32 v150, v129, v133
	v_mul_f32_e32 v0, v129, v132
	v_fmac_f32_e32 v150, v128, v132
	v_fma_f32 v129, v128, v133, -v0
	ds_read2_b64 v[132:135], v229 offset1:90
	s_waitcnt lgkmcnt(0)
	s_barrier
	buffer_gl0_inv
	s_clause 0x1
	buffer_load_dword v28, off, s[20:23], 0 offset:480
	buffer_load_dword v35, off, s[20:23], 0 offset:484
	v_sub_f32_e32 v0, v190, v163
	v_add_f32_e32 v14, v129, v160
	v_add_f32_e32 v177, v0, v1
	v_sub_f32_e32 v0, v7, v162
	v_sub_f32_e32 v1, v158, v169
	v_add_f32_e32 v14, v14, v11
	v_add_f32_e32 v151, v0, v1
	v_sub_f32_e32 v0, v161, v168
	v_sub_f32_e32 v1, v248, v250
	v_fma_f32 v202, -0.5, v15, v133
	v_add_f32_e32 v14, v14, v249
	v_add_f32_e32 v128, v0, v1
	v_sub_f32_e32 v0, v160, v11
	v_sub_f32_e32 v1, v246, v249
	v_add_f32_e32 v21, v14, v246
	v_add_f32_e32 v12, v0, v1
	;; [unrolled: 1-line block ×3, first 2 shown]
	v_fma_f32 v192, -0.5, v0, v150
	v_add_f32_e32 v0, v11, v249
	v_sub_f32_e32 v11, v11, v160
	v_fmamk_f32 v2, v198, 0xbf737871, v192
	v_fma_f32 v0, -0.5, v0, v129
	v_fmac_f32_e32 v192, 0x3f737871, v198
	v_fmac_f32_e32 v2, 0xbf167918, v9
	v_fmamk_f32 v1, v8, 0x3f737871, v0
	v_fmac_f32_e32 v0, 0xbf737871, v8
	v_fmac_f32_e32 v192, 0x3f167918, v9
	;; [unrolled: 1-line block ×8, first 2 shown]
	v_sub_f32_e32 v12, v140, v238
	v_mul_f32_e32 v5, 0xbf167918, v1
	v_mul_f32_e32 v4, 0x3f4f1bbd, v1
	v_add_f32_e32 v1, v132, v190
	v_fmac_f32_e32 v5, 0x3f4f1bbd, v2
	v_fmac_f32_e32 v4, 0x3f167918, v2
	v_add_f32_e32 v1, v1, v163
	v_add_f32_e32 v1, v1, v171
	;; [unrolled: 1-line block ×4, first 2 shown]
	v_fma_f32 v200, -0.5, v1, v132
	v_add_f32_e32 v1, v133, v7
	v_fmamk_f32 v2, v206, 0xbf737871, v200
	v_add_f32_e32 v1, v1, v162
	v_fmac_f32_e32 v200, 0x3f737871, v206
	v_fmac_f32_e32 v2, 0xbf167918, v6
	v_add_f32_e32 v13, v1, v169
	v_add_f32_e32 v1, v150, v161
	v_fmac_f32_e32 v200, 0x3f167918, v6
	v_fmac_f32_e32 v2, 0x3e9e377a, v177
	v_add_f32_e32 v19, v13, v158
	v_add_f32_e32 v1, v1, v168
	v_fmac_f32_e32 v200, 0x3e9e377a, v177
	v_add_f32_e32 v14, v19, v21
	v_add_f32_e32 v15, v1, v250
	v_fmamk_f32 v1, v17, 0x3f737871, v202
	v_fmac_f32_e32 v202, 0xbf737871, v17
	v_add_f32_e32 v20, v15, v248
	v_fmac_f32_e32 v1, 0x3f167918, v18
	v_add_f32_e32 v15, v2, v5
	;; [unrolled: 2-line block ×3, first 2 shown]
	v_fmac_f32_e32 v1, 0x3e9e377a, v151
	v_fmac_f32_e32 v202, 0x3e9e377a, v151
	v_add_f32_e32 v16, v1, v4
	v_sub_f32_e32 v1, v1, v4
	s_waitcnt vmcnt(1)
	ds_write2_b64 v28, v[13:14], v[15:16] offset1:3
	v_sub_f32_e32 v14, v171, v3
	v_add_f32_e32 v3, v190, v3
	v_sub_f32_e32 v13, v163, v190
	v_add_f32_e32 v15, v161, v248
	v_sub_f32_e32 v16, v250, v248
	v_fma_f32 v22, -0.5, v3, v132
	v_add_f32_e32 v13, v13, v14
	v_sub_f32_e32 v14, v169, v158
	v_fmac_f32_e32 v150, -0.5, v15
	v_fmamk_f32 v3, v6, 0x3f737871, v22
	v_fmac_f32_e32 v22, 0xbf737871, v6
	v_fmac_f32_e32 v3, 0xbf167918, v206
	;; [unrolled: 1-line block ×5, first 2 shown]
	v_sub_f32_e32 v13, v162, v7
	v_add_f32_e32 v7, v7, v158
	v_add_f32_e32 v13, v13, v14
	v_fma_f32 v23, -0.5, v7, v133
	v_sub_f32_e32 v14, v168, v161
	v_fmamk_f32 v24, v18, 0xbf737871, v23
	v_fmac_f32_e32 v23, 0x3f737871, v18
	v_add_f32_e32 v7, v14, v16
	v_fmamk_f32 v14, v9, 0x3f737871, v150
	v_fmac_f32_e32 v150, 0xbf737871, v9
	v_fmac_f32_e32 v24, 0x3f167918, v17
	;; [unrolled: 1-line block ×3, first 2 shown]
	v_mul_f32_e32 v9, 0xbf4f1bbd, v0
	v_fmac_f32_e32 v14, 0xbf167918, v198
	v_fmac_f32_e32 v150, 0x3f167918, v198
	;; [unrolled: 1-line block ×4, first 2 shown]
	v_add_f32_e32 v13, v160, v246
	v_fmac_f32_e32 v14, 0x3e9e377a, v7
	v_fmac_f32_e32 v150, 0x3e9e377a, v7
	;; [unrolled: 1-line block ×3, first 2 shown]
	v_sub_f32_e32 v18, v149, v165
	v_fmac_f32_e32 v129, -0.5, v13
	v_sub_f32_e32 v13, v249, v246
	v_add_f32_e32 v7, v11, v13
	v_fmamk_f32 v11, v10, 0xbf737871, v129
	v_fmac_f32_e32 v129, 0x3f737871, v10
	v_sub_f32_e32 v10, v154, v176
	v_fmac_f32_e32 v11, 0x3f167918, v8
	v_fmac_f32_e32 v129, 0xbf167918, v8
	v_mul_f32_e32 v8, 0xbf167918, v0
	v_sub_f32_e32 v0, v2, v5
	v_fmac_f32_e32 v11, 0x3e9e377a, v7
	v_fmac_f32_e32 v129, 0x3e9e377a, v7
	;; [unrolled: 1-line block ×3, first 2 shown]
	v_add_f32_e32 v7, v202, v9
	v_mul_f32_e32 v25, 0xbf737871, v11
	v_mul_f32_e32 v11, 0x3e9e377a, v11
	;; [unrolled: 1-line block ×4, first 2 shown]
	v_add_f32_e32 v6, v200, v8
	v_fmac_f32_e32 v25, 0x3e9e377a, v14
	v_fmac_f32_e32 v11, 0x3f737871, v14
	v_fmac_f32_e32 v26, 0xbe9e377a, v150
	v_fmac_f32_e32 v27, 0x3f737871, v150
	v_add_f32_e32 v13, v3, v25
	v_sub_f32_e32 v2, v3, v25
	v_sub_f32_e32 v3, v24, v11
	v_add_f32_e32 v14, v24, v11
	v_add_f32_e32 v15, v22, v26
	;; [unrolled: 1-line block ×3, first 2 shown]
	v_sub_f32_e32 v11, v166, v173
	ds_write2_b64 v28, v[0:1], v[2:3] offset0:18 offset1:21
	v_sub_f32_e32 v0, v22, v26
	v_sub_f32_e32 v1, v23, v27
	v_sub_f32_e32 v2, v200, v8
	v_sub_f32_e32 v3, v202, v9
	ds_write2_b64 v28, v[13:14], v[15:16] offset0:6 offset1:9
	v_sub_f32_e32 v13, v204, v20
	v_sub_f32_e32 v14, v19, v21
	;; [unrolled: 1-line block ×3, first 2 shown]
	ds_write2_b64 v28, v[0:1], v[2:3] offset0:24 offset1:27
	v_sub_f32_e32 v0, v148, v155
	v_sub_f32_e32 v1, v245, v167
	ds_write2_b64 v28, v[6:7], v[13:14] offset0:12 offset1:15
	v_sub_f32_e32 v13, v152, v164
	v_add_f32_e32 v3, v143, v153
	v_add_f32_e32 v2, v142, v140
	v_add_f32_e32 v4, v0, v1
	v_sub_f32_e32 v0, v149, v143
	v_sub_f32_e32 v1, v165, v153
	v_fma_f32 v21, -0.5, v3, v135
	v_sub_f32_e32 v20, v143, v153
	v_add_f32_e32 v2, v2, v152
	v_sub_f32_e32 v24, v155, v167
	v_add_f32_e32 v5, v0, v1
	v_sub_f32_e32 v0, v154, v166
	v_sub_f32_e32 v1, v176, v173
	v_fmamk_f32 v23, v22, 0x3f737871, v21
	v_add_f32_e32 v2, v2, v164
	v_sub_f32_e32 v28, v153, v165
	v_fmac_f32_e32 v21, 0xbf737871, v22
	v_add_f32_e32 v6, v0, v1
	v_sub_f32_e32 v0, v140, v152
	v_sub_f32_e32 v1, v238, v164
	v_fmac_f32_e32 v23, 0x3f167918, v24
	v_add_f32_e32 v27, v2, v238
	v_fmac_f32_e32 v21, 0xbf167918, v24
	v_add_f32_e32 v7, v0, v1
	v_add_f32_e32 v0, v166, v173
	v_fmac_f32_e32 v23, 0x3e9e377a, v5
	v_fmac_f32_e32 v21, 0x3e9e377a, v5
	v_fma_f32 v8, -0.5, v0, v141
	v_add_f32_e32 v0, v152, v164
	v_fmamk_f32 v1, v12, 0xbf737871, v8
	v_fma_f32 v9, -0.5, v0, v142
	v_fmac_f32_e32 v8, 0x3f737871, v12
	v_fmac_f32_e32 v1, 0xbf167918, v13
	v_fmamk_f32 v0, v10, 0x3f737871, v9
	v_fmac_f32_e32 v9, 0xbf737871, v10
	v_fmac_f32_e32 v8, 0x3f167918, v13
	;; [unrolled: 1-line block ×8, first 2 shown]
	v_mul_f32_e32 v14, 0xbf167918, v0
	v_mul_f32_e32 v15, 0x3f4f1bbd, v0
	v_add_f32_e32 v0, v134, v148
	v_mul_f32_e32 v5, 0xbf4f1bbd, v9
	v_fmac_f32_e32 v14, 0x3f4f1bbd, v1
	v_fmac_f32_e32 v15, 0x3f167918, v1
	v_add_f32_e32 v0, v0, v155
	v_add_f32_e32 v1, v141, v154
	v_fmac_f32_e32 v5, 0x3f167918, v8
	v_add_f32_e32 v3, v23, v15
	v_add_f32_e32 v0, v0, v167
	;; [unrolled: 1-line block ×6, first 2 shown]
	v_fma_f32 v17, -0.5, v0, v134
	v_add_f32_e32 v0, v135, v149
	v_add_f32_e32 v26, v1, v176
	v_fmamk_f32 v19, v18, 0xbf737871, v17
	v_add_f32_e32 v0, v0, v143
	v_fmac_f32_e32 v17, 0x3f737871, v18
	v_fmac_f32_e32 v19, 0xbf167918, v20
	v_add_f32_e32 v0, v0, v153
	v_fmac_f32_e32 v17, 0x3f167918, v20
	v_fmac_f32_e32 v19, 0x3e9e377a, v4
	v_add_f32_e32 v25, v0, v165
	v_add_f32_e32 v0, v16, v26
	v_fmac_f32_e32 v17, 0x3e9e377a, v4
	v_mul_f32_e32 v4, 0xbf167918, v9
	v_add_f32_e32 v2, v19, v14
	v_add_f32_e32 v1, v25, v27
	v_fmac_f32_e32 v4, 0xbf4f1bbd, v8
	s_waitcnt vmcnt(0)
	ds_write2_b64 v35, v[0:1], v[2:3] offset1:3
	v_add_f32_e32 v2, v148, v245
	v_sub_f32_e32 v0, v155, v148
	v_sub_f32_e32 v1, v167, v245
	v_add_f32_e32 v3, v149, v165
	v_fma_f32 v29, -0.5, v2, v134
	v_add_f32_e32 v2, v154, v176
	v_add_f32_e32 v0, v0, v1
	v_sub_f32_e32 v1, v143, v149
	v_fmac_f32_e32 v135, -0.5, v3
	v_fmamk_f32 v30, v20, 0x3f737871, v29
	v_fmac_f32_e32 v29, 0xbf737871, v20
	v_sub_f32_e32 v3, v173, v176
	v_fmac_f32_e32 v141, -0.5, v2
	v_sub_f32_e32 v2, v164, v238
	v_fmac_f32_e32 v30, 0xbf167918, v18
	v_fmac_f32_e32 v29, 0x3f167918, v18
	v_sub_f32_e32 v18, v139, v175
	v_sub_f32_e32 v20, v146, v170
	v_fmac_f32_e32 v30, 0x3e9e377a, v0
	v_fmac_f32_e32 v29, 0x3e9e377a, v0
	v_add_f32_e32 v0, v1, v28
	v_fmamk_f32 v28, v24, 0xbf737871, v135
	v_fmac_f32_e32 v135, 0x3f737871, v24
	v_sub_f32_e32 v1, v166, v154
	v_sub_f32_e32 v24, v147, v159
	v_fmac_f32_e32 v28, 0x3f167918, v22
	v_fmac_f32_e32 v135, 0xbf167918, v22
	v_sub_f32_e32 v22, v138, v237
	v_fmac_f32_e32 v28, 0x3e9e377a, v0
	v_fmac_f32_e32 v135, 0x3e9e377a, v0
	v_add_f32_e32 v0, v1, v3
	v_add_f32_e32 v1, v140, v238
	v_fmamk_f32 v3, v13, 0x3f737871, v141
	v_fmac_f32_e32 v141, 0xbf737871, v13
	v_sub_f32_e32 v13, v156, v172
	v_fmac_f32_e32 v142, -0.5, v1
	v_sub_f32_e32 v1, v152, v140
	v_fmac_f32_e32 v3, 0xbf167918, v12
	v_fmac_f32_e32 v141, 0x3f167918, v12
	v_sub_f32_e32 v12, v144, v247
	v_fmac_f32_e32 v3, 0x3e9e377a, v0
	v_fmac_f32_e32 v141, 0x3e9e377a, v0
	v_add_f32_e32 v0, v1, v2
	v_fmamk_f32 v1, v11, 0xbf737871, v142
	v_fmac_f32_e32 v142, 0x3f737871, v11
	v_sub_f32_e32 v11, v157, v174
	v_fmac_f32_e32 v1, 0x3f167918, v10
	v_fmac_f32_e32 v142, 0xbf167918, v10
	v_sub_f32_e32 v10, v145, v180
	v_fmac_f32_e32 v1, 0x3e9e377a, v0
	v_fmac_f32_e32 v142, 0x3e9e377a, v0
	v_mul_f32_e32 v31, 0xbf737871, v1
	v_mul_f32_e32 v32, 0x3e9e377a, v1
	;; [unrolled: 1-line block ×4, first 2 shown]
	v_fmac_f32_e32 v31, 0x3e9e377a, v3
	v_fmac_f32_e32 v32, 0x3f737871, v3
	;; [unrolled: 1-line block ×4, first 2 shown]
	v_add_f32_e32 v0, v30, v31
	v_add_f32_e32 v1, v28, v32
	;; [unrolled: 1-line block ×4, first 2 shown]
	ds_write2_b64 v35, v[0:1], v[2:3] offset0:6 offset1:9
	v_sub_f32_e32 v0, v16, v26
	v_sub_f32_e32 v1, v25, v27
	v_add_f32_e32 v2, v17, v4
	v_add_f32_e32 v3, v21, v5
	ds_write2_b64 v35, v[2:3], v[0:1] offset0:12 offset1:15
	v_sub_f32_e32 v0, v19, v14
	v_sub_f32_e32 v1, v23, v15
	;; [unrolled: 1-line block ×5, first 2 shown]
	ds_write2_b64 v35, v[0:1], v[2:3] offset0:18 offset1:21
	v_sub_f32_e32 v1, v135, v34
	v_sub_f32_e32 v0, v29, v33
	;; [unrolled: 1-line block ×4, first 2 shown]
	ds_write2_b64 v35, v[0:1], v[2:3] offset0:24 offset1:27
	v_sub_f32_e32 v0, v138, v147
	v_sub_f32_e32 v1, v237, v159
	v_add_f32_e32 v3, v146, v170
	v_add_f32_e32 v2, v137, v144
	;; [unrolled: 1-line block ×3, first 2 shown]
	v_sub_f32_e32 v0, v139, v146
	v_sub_f32_e32 v1, v175, v170
	v_fma_f32 v21, -0.5, v3, v131
	v_add_f32_e32 v2, v2, v156
	v_add_f32_e32 v5, v0, v1
	v_sub_f32_e32 v0, v145, v157
	v_sub_f32_e32 v1, v180, v174
	v_fmamk_f32 v23, v22, 0x3f737871, v21
	v_add_f32_e32 v2, v2, v172
	v_fmac_f32_e32 v21, 0xbf737871, v22
	v_add_f32_e32 v6, v0, v1
	v_sub_f32_e32 v0, v144, v156
	v_sub_f32_e32 v1, v247, v172
	v_fmac_f32_e32 v23, 0x3f167918, v24
	v_add_f32_e32 v27, v2, v247
	v_fmac_f32_e32 v21, 0xbf167918, v24
	v_add_f32_e32 v7, v0, v1
	v_add_f32_e32 v0, v157, v174
	v_fmac_f32_e32 v23, 0x3e9e377a, v5
	v_fmac_f32_e32 v21, 0x3e9e377a, v5
	v_fma_f32 v8, -0.5, v0, v136
	v_add_f32_e32 v0, v156, v172
	v_fmamk_f32 v1, v12, 0xbf737871, v8
	v_fma_f32 v9, -0.5, v0, v137
	v_fmac_f32_e32 v8, 0x3f737871, v12
	v_fmac_f32_e32 v1, 0xbf167918, v13
	v_fmamk_f32 v0, v10, 0x3f737871, v9
	v_fmac_f32_e32 v9, 0xbf737871, v10
	v_fmac_f32_e32 v8, 0x3f167918, v13
	;; [unrolled: 1-line block ×8, first 2 shown]
	v_mul_f32_e32 v14, 0xbf167918, v0
	v_mul_f32_e32 v15, 0x3f4f1bbd, v0
	v_add_f32_e32 v0, v130, v138
	v_mul_f32_e32 v5, 0xbf4f1bbd, v9
	v_fmac_f32_e32 v14, 0x3f4f1bbd, v1
	v_fmac_f32_e32 v15, 0x3f167918, v1
	v_add_f32_e32 v0, v0, v147
	v_add_f32_e32 v1, v136, v145
	v_fmac_f32_e32 v5, 0x3f167918, v8
	v_add_f32_e32 v3, v23, v15
	v_add_f32_e32 v0, v0, v159
	;; [unrolled: 1-line block ×6, first 2 shown]
	v_fma_f32 v17, -0.5, v0, v130
	v_add_f32_e32 v0, v131, v139
	v_add_f32_e32 v26, v1, v180
	v_fmamk_f32 v19, v18, 0xbf737871, v17
	v_add_f32_e32 v0, v0, v146
	v_fmac_f32_e32 v17, 0x3f737871, v18
	v_fmac_f32_e32 v19, 0xbf167918, v20
	v_add_f32_e32 v0, v0, v170
	v_fmac_f32_e32 v17, 0x3f167918, v20
	v_fmac_f32_e32 v19, 0x3e9e377a, v4
	v_add_f32_e32 v25, v0, v175
	v_add_f32_e32 v0, v16, v26
	v_fmac_f32_e32 v17, 0x3e9e377a, v4
	v_mul_f32_e32 v4, 0xbf167918, v9
	v_add_f32_e32 v2, v19, v14
	v_add_f32_e32 v1, v25, v27
	v_fmac_f32_e32 v4, 0xbf4f1bbd, v8
	ds_write2_b64 v236, v[0:1], v[2:3] offset1:3
	v_add_f32_e32 v2, v138, v237
	v_sub_f32_e32 v0, v147, v138
	v_sub_f32_e32 v1, v159, v237
	v_add_f32_e32 v3, v139, v175
	v_fma_f32 v29, -0.5, v2, v130
	v_add_f32_e32 v2, v145, v180
	v_add_f32_e32 v0, v0, v1
	v_sub_f32_e32 v1, v146, v139
	v_fmac_f32_e32 v131, -0.5, v3
	v_fmamk_f32 v30, v20, 0x3f737871, v29
	v_fmac_f32_e32 v29, 0xbf737871, v20
	v_sub_f32_e32 v3, v174, v180
	v_fmac_f32_e32 v136, -0.5, v2
	v_sub_f32_e32 v2, v172, v247
	v_fmac_f32_e32 v30, 0xbf167918, v18
	v_fmac_f32_e32 v29, 0x3f167918, v18
	;; [unrolled: 1-line block ×4, first 2 shown]
	v_add_f32_e32 v0, v1, v28
	v_fmamk_f32 v28, v24, 0xbf737871, v131
	v_fmac_f32_e32 v131, 0x3f737871, v24
	v_sub_f32_e32 v1, v157, v145
	v_fmac_f32_e32 v28, 0x3f167918, v22
	v_fmac_f32_e32 v131, 0xbf167918, v22
	;; [unrolled: 1-line block ×4, first 2 shown]
	v_add_f32_e32 v0, v1, v3
	v_add_f32_e32 v1, v144, v247
	v_fmamk_f32 v3, v13, 0x3f737871, v136
	v_fmac_f32_e32 v136, 0xbf737871, v13
	v_fmac_f32_e32 v137, -0.5, v1
	v_sub_f32_e32 v1, v156, v144
	v_fmac_f32_e32 v3, 0xbf167918, v12
	v_fmac_f32_e32 v136, 0x3f167918, v12
	;; [unrolled: 1-line block ×4, first 2 shown]
	v_add_f32_e32 v0, v1, v2
	v_fmamk_f32 v1, v11, 0xbf737871, v137
	v_fmac_f32_e32 v137, 0x3f737871, v11
	v_fmac_f32_e32 v1, 0x3f167918, v10
	;; [unrolled: 1-line block ×5, first 2 shown]
	v_mul_f32_e32 v31, 0xbf737871, v1
	v_mul_f32_e32 v32, 0x3e9e377a, v1
	;; [unrolled: 1-line block ×4, first 2 shown]
	v_fmac_f32_e32 v31, 0x3e9e377a, v3
	v_fmac_f32_e32 v32, 0x3f737871, v3
	;; [unrolled: 1-line block ×4, first 2 shown]
	v_add_f32_e32 v0, v30, v31
	v_add_f32_e32 v1, v28, v32
	;; [unrolled: 1-line block ×4, first 2 shown]
	ds_write2_b64 v236, v[0:1], v[2:3] offset0:6 offset1:9
	v_sub_f32_e32 v0, v16, v26
	v_sub_f32_e32 v1, v25, v27
	v_add_f32_e32 v2, v17, v4
	v_add_f32_e32 v3, v21, v5
	ds_write2_b64 v236, v[2:3], v[0:1] offset0:12 offset1:15
	v_sub_f32_e32 v0, v19, v14
	v_sub_f32_e32 v1, v23, v15
	;; [unrolled: 1-line block ×4, first 2 shown]
	ds_write2_b64 v236, v[0:1], v[2:3] offset0:18 offset1:21
	v_sub_f32_e32 v1, v131, v34
	v_sub_f32_e32 v0, v29, v33
	;; [unrolled: 1-line block ×4, first 2 shown]
	ds_write2_b64 v236, v[0:1], v[2:3] offset0:24 offset1:27
	s_waitcnt lgkmcnt(0)
	s_barrier
	buffer_gl0_inv
	ds_read2_b64 v[0:3], v46 offset0:88 offset1:178
	s_clause 0x1
	buffer_load_dword v4, off, s[20:23], 0 offset:424
	buffer_load_dword v5, off, s[20:23], 0 offset:428
	s_waitcnt vmcnt(0) lgkmcnt(0)
	v_mul_f32_e32 v132, v5, v1
	v_fmac_f32_e32 v132, v4, v0
	v_mul_f32_e32 v0, v5, v0
	v_fma_f32 v131, v4, v1, -v0
	s_clause 0x1
	buffer_load_dword v4, off, s[20:23], 0 offset:432
	buffer_load_dword v5, off, s[20:23], 0 offset:436
	s_waitcnt vmcnt(0)
	v_mul_f32_e32 v129, v5, v3
	v_mul_f32_e32 v0, v5, v2
	v_fmac_f32_e32 v129, v4, v2
	v_fma_f32 v130, v4, v3, -v0
	ds_read2_b64 v[0:3], v61 offset0:36 offset1:126
	s_clause 0x1
	buffer_load_dword v4, off, s[20:23], 0 offset:416
	buffer_load_dword v5, off, s[20:23], 0 offset:420
	s_waitcnt lgkmcnt(0)
	v_mul_f32_e32 v128, v127, v1
	v_fmac_f32_e32 v128, v126, v0
	v_mul_f32_e32 v0, v127, v0
	v_fma_f32 v127, v126, v1, -v0
	s_waitcnt vmcnt(0)
	v_mul_f32_e32 v135, v5, v3
	v_fmac_f32_e32 v135, v4, v2
	v_mul_f32_e32 v2, v5, v2
	v_fma_f32 v134, v4, v3, -v2
	ds_read2_b64 v[0:3], v178 offset0:60 offset1:150
	s_waitcnt lgkmcnt(0)
	v_mul_f32_e32 v126, v125, v3
	v_fmac_f32_e32 v126, v124, v2
	v_mul_f32_e32 v2, v125, v2
	v_mul_f32_e32 v125, v117, v1
	v_fma_f32 v124, v124, v3, -v2
	v_fmac_f32_e32 v125, v116, v0
	v_mul_f32_e32 v0, v117, v0
	v_fma_f32 v116, v116, v1, -v0
	ds_read2_b64 v[1:4], v224 offset0:112 offset1:202
	s_waitcnt lgkmcnt(0)
	v_mul_f32_e32 v0, v119, v3
	v_mul_f32_e32 v133, v119, v4
	v_fma_f32 v117, v118, v4, -v0
	v_mul_f32_e32 v0, v111, v2
	v_fmac_f32_e32 v133, v118, v3
	v_fmac_f32_e32 v0, v110, v1
	v_mul_f32_e32 v1, v111, v1
	v_fma_f32 v138, v110, v2, -v1
	ds_read2_b64 v[1:4], v189 offset0:8 offset1:98
	s_waitcnt lgkmcnt(0)
	v_mul_f32_e32 v137, v109, v4
	v_fmac_f32_e32 v137, v108, v3
	v_mul_f32_e32 v3, v109, v3
	v_sub_f32_e32 v21, v137, v135
	v_fma_f32 v136, v108, v4, -v3
	v_mul_f32_e32 v108, v123, v2
	v_fmac_f32_e32 v108, v122, v1
	v_mul_f32_e32 v1, v123, v1
	v_fma_f32 v109, v122, v2, -v1
	ds_read2_b64 v[1:4], v62 offset0:160 offset1:250
	s_waitcnt lgkmcnt(0)
	v_mul_f32_e32 v110, v121, v4
	v_mul_f32_e32 v118, v105, v2
	v_fmac_f32_e32 v110, v120, v3
	v_mul_f32_e32 v3, v121, v3
	v_fmac_f32_e32 v118, v104, v1
	v_mul_f32_e32 v1, v105, v1
	v_fma_f32 v111, v120, v4, -v3
	v_fma_f32 v104, v104, v2, -v1
	ds_read2_b64 v[1:4], v201 offset0:84 offset1:174
	s_waitcnt lgkmcnt(0)
	v_mul_f32_e32 v119, v107, v4
	v_mul_f32_e32 v122, v99, v2
	v_fmac_f32_e32 v119, v106, v3
	v_mul_f32_e32 v3, v107, v3
	v_fmac_f32_e32 v122, v98, v1
	v_mul_f32_e32 v1, v99, v1
	v_fma_f32 v105, v106, v4, -v3
	v_fma_f32 v121, v98, v2, -v1
	ds_read2_b64 v[1:4], v179 offset0:108 offset1:198
	v_sub_f32_e32 v28, v105, v117
	s_waitcnt lgkmcnt(0)
	v_mul_f32_e32 v120, v97, v4
	v_fmac_f32_e32 v120, v96, v3
	v_mul_f32_e32 v3, v97, v3
	v_fma_f32 v3, v96, v4, -v3
	ds_read2_b64 v[4:7], v199 offset0:132 offset1:222
	v_mul_f32_e32 v96, v115, v2
	v_fmac_f32_e32 v96, v114, v1
	v_mul_f32_e32 v1, v115, v1
	v_fma_f32 v99, v114, v2, -v1
	s_waitcnt lgkmcnt(0)
	v_mul_f32_e32 v1, v113, v6
	v_mul_f32_e32 v97, v113, v7
	;; [unrolled: 1-line block ×3, first 2 shown]
	v_fma_f32 v98, v112, v7, -v1
	v_mul_f32_e32 v1, v93, v4
	v_fmac_f32_e32 v97, v112, v6
	v_fmac_f32_e32 v106, v92, v4
	v_fma_f32 v92, v92, v5, -v1
	ds_read2_b64 v[4:7], v191 offset0:56 offset1:146
	s_waitcnt lgkmcnt(0)
	v_mul_f32_e32 v1, v95, v6
	v_mul_f32_e32 v107, v95, v7
	v_mul_f32_e32 v115, v91, v5
	v_fma_f32 v95, v94, v7, -v1
	v_mul_f32_e32 v1, v91, v4
	v_fmac_f32_e32 v107, v94, v6
	v_fmac_f32_e32 v115, v90, v4
	v_fma_f32 v114, v90, v5, -v1
	ds_read2_b64 v[4:7], v63 offset0:80 offset1:170
	v_sub_f32_e32 v17, v115, v122
	v_sub_f32_e32 v145, v114, v121
	s_waitcnt lgkmcnt(0)
	v_mul_f32_e32 v1, v89, v6
	v_mul_f32_e32 v113, v89, v7
	;; [unrolled: 1-line block ×3, first 2 shown]
	v_fma_f32 v112, v88, v7, -v1
	v_mul_f32_e32 v1, v103, v4
	v_fmac_f32_e32 v113, v88, v6
	v_fmac_f32_e32 v90, v102, v4
	v_sub_f32_e32 v142, v112, v134
	v_fma_f32 v91, v102, v5, -v1
	ds_read2_b64 v[4:7], v255 offset0:104 offset1:194
	s_waitcnt lgkmcnt(0)
	v_mul_f32_e32 v1, v101, v6
	v_mul_f32_e32 v88, v101, v7
	;; [unrolled: 1-line block ×3, first 2 shown]
	v_fma_f32 v89, v100, v7, -v1
	v_mul_f32_e32 v1, v85, v4
	v_fmac_f32_e32 v88, v100, v6
	v_fmac_f32_e32 v93, v84, v4
	v_fma_f32 v94, v84, v5, -v1
	ds_read2_b64 v[4:7], v205 offset0:28 offset1:118
	s_waitcnt lgkmcnt(0)
	v_mul_f32_e32 v1, v87, v6
	v_mul_f32_e32 v123, v83, v5
	;; [unrolled: 1-line block ×3, first 2 shown]
	v_fma_f32 v101, v86, v7, -v1
	v_mul_f32_e32 v1, v83, v4
	v_fmac_f32_e32 v123, v82, v4
	v_fmac_f32_e32 v100, v86, v6
	v_sub_f32_e32 v4, v0, v122
	v_sub_f32_e32 v6, v113, v135
	v_fma_f32 v1, v82, v5, -v1
	ds_read2_b64 v[82:85], v197 offset0:52 offset1:142
	v_sub_f32_e32 v5, v134, v136
	v_sub_f32_e32 v16, v123, v0
	;; [unrolled: 1-line block ×3, first 2 shown]
	s_waitcnt lgkmcnt(0)
	v_mul_f32_e32 v102, v81, v85
	v_mul_f32_e32 v2, v81, v84
	v_fmac_f32_e32 v102, v80, v84
	v_fma_f32 v81, v80, v85, -v2
	ds_read2_b64 v[84:87], v229 offset1:90
	s_waitcnt lgkmcnt(0)
	s_barrier
	buffer_gl0_inv
	buffer_load_dword v27, off, s[20:23], 0 offset:328 ; 4-byte Folded Reload
	v_sub_f32_e32 v2, v123, v115
	s_clause 0x1
	buffer_load_dword v35, off, s[20:23], 0 offset:324
	buffer_load_dword v36, off, s[20:23], 0 offset:296
	v_add_f32_e32 v80, v2, v4
	v_sub_f32_e32 v2, v1, v114
	v_sub_f32_e32 v4, v138, v121
	v_add_f32_e32 v103, v2, v4
	v_sub_f32_e32 v2, v113, v120
	v_sub_f32_e32 v4, v135, v137
	v_add_f32_e32 v2, v2, v4
	v_sub_f32_e32 v4, v112, v3
	v_add_f32_e32 v141, v4, v5
	v_add_f32_e32 v4, v120, v137
	v_sub_f32_e32 v5, v3, v136
	v_fma_f32 v139, -0.5, v4, v102
	v_add_f32_e32 v4, v3, v136
	v_fmamk_f32 v10, v142, 0xbf737871, v139
	v_fma_f32 v140, -0.5, v4, v81
	v_sub_f32_e32 v4, v120, v137
	v_fmac_f32_e32 v139, 0x3f737871, v142
	v_fmac_f32_e32 v10, 0xbf167918, v5
	v_fmamk_f32 v8, v6, 0x3f737871, v140
	v_fmac_f32_e32 v140, 0xbf737871, v6
	v_fmac_f32_e32 v139, 0x3f167918, v5
	;; [unrolled: 1-line block ×8, first 2 shown]
	v_mul_f32_e32 v7, 0xbf167918, v8
	v_mul_f32_e32 v9, 0x3f4f1bbd, v8
	v_add_f32_e32 v8, v84, v123
	v_fmac_f32_e32 v7, 0x3f4f1bbd, v10
	v_fmac_f32_e32 v9, 0x3f167918, v10
	v_add_f32_e32 v10, v85, v1
	v_add_f32_e32 v8, v8, v115
	;; [unrolled: 1-line block ×11, first 2 shown]
	v_fma_f32 v8, -0.5, v8, v84
	v_add_f32_e32 v13, v13, v137
	v_add_f32_e32 v14, v10, v3
	;; [unrolled: 1-line block ×3, first 2 shown]
	v_fmamk_f32 v11, v146, 0xbf737871, v8
	v_fmac_f32_e32 v8, 0x3f737871, v146
	v_add_f32_e32 v19, v13, v135
	v_add_f32_e32 v14, v14, v136
	v_fma_f32 v10, -0.5, v10, v85
	v_fmac_f32_e32 v11, 0xbf167918, v145
	v_fmac_f32_e32 v8, 0x3f167918, v145
	v_add_f32_e32 v12, v144, v19
	v_add_f32_e32 v20, v14, v134
	v_fmamk_f32 v143, v16, 0x3f737871, v10
	v_fmac_f32_e32 v11, 0x3e9e377a, v80
	v_fmac_f32_e32 v10, 0xbf737871, v16
	;; [unrolled: 1-line block ×3, first 2 shown]
	v_add_f32_e32 v13, v18, v20
	v_fmac_f32_e32 v143, 0x3f167918, v17
	v_add_f32_e32 v14, v11, v7
	v_fmac_f32_e32 v10, 0xbf167918, v17
	v_fmac_f32_e32 v143, 0x3e9e377a, v103
	;; [unrolled: 1-line block ×3, first 2 shown]
	v_add_f32_e32 v15, v143, v9
	s_waitcnt vmcnt(2)
	ds_write2_b64 v27, v[12:13], v[14:15] offset1:30
	v_sub_f32_e32 v13, v122, v0
	v_add_f32_e32 v0, v123, v0
	v_sub_f32_e32 v12, v115, v123
	v_fma_f32 v14, -0.5, v0, v84
	v_sub_f32_e32 v0, v114, v1
	v_add_f32_e32 v1, v1, v138
	v_add_f32_e32 v12, v12, v13
	v_add_f32_e32 v13, v113, v135
	v_fmamk_f32 v15, v145, 0x3f737871, v14
	v_fmac_f32_e32 v14, 0xbf737871, v145
	v_fma_f32 v22, -0.5, v1, v85
	v_add_f32_e32 v1, v112, v134
	v_fmac_f32_e32 v102, -0.5, v13
	v_fmac_f32_e32 v15, 0xbf167918, v146
	v_fmac_f32_e32 v14, 0x3f167918, v146
	v_fmamk_f32 v23, v17, 0xbf737871, v22
	v_fmac_f32_e32 v22, 0x3f737871, v17
	v_fmac_f32_e32 v81, -0.5, v1
	v_fmac_f32_e32 v15, 0x3e9e377a, v12
	v_fmac_f32_e32 v14, 0x3e9e377a, v12
	v_sub_f32_e32 v12, v121, v138
	v_fmac_f32_e32 v23, 0x3f167918, v16
	v_fmac_f32_e32 v22, 0xbf167918, v16
	v_sub_f32_e32 v1, v3, v112
	v_sub_f32_e32 v3, v136, v134
	v_add_f32_e32 v0, v0, v12
	v_sub_f32_e32 v12, v120, v113
	v_fmac_f32_e32 v23, 0x3e9e377a, v0
	v_fmac_f32_e32 v22, 0x3e9e377a, v0
	v_add_f32_e32 v0, v12, v21
	v_fmamk_f32 v12, v5, 0x3f737871, v102
	v_fmac_f32_e32 v102, 0xbf737871, v5
	v_mul_f32_e32 v5, 0xbf4f1bbd, v140
	v_fmac_f32_e32 v12, 0xbf167918, v142
	v_fmac_f32_e32 v102, 0x3f167918, v142
	;; [unrolled: 1-line block ×5, first 2 shown]
	v_add_f32_e32 v0, v1, v3
	v_fmamk_f32 v1, v4, 0xbf737871, v81
	v_fmac_f32_e32 v81, 0x3f737871, v4
	v_mul_f32_e32 v4, 0xbf167918, v140
	v_add_f32_e32 v3, v10, v5
	v_fmac_f32_e32 v1, 0x3f167918, v6
	v_fmac_f32_e32 v81, 0xbf167918, v6
	v_fmac_f32_e32 v4, 0xbf4f1bbd, v139
	v_fmac_f32_e32 v1, 0x3e9e377a, v0
	v_fmac_f32_e32 v81, 0x3e9e377a, v0
	v_add_f32_e32 v2, v8, v4
	v_mul_f32_e32 v21, 0xbf737871, v1
	v_mul_f32_e32 v24, 0x3e9e377a, v1
	;; [unrolled: 1-line block ×4, first 2 shown]
	v_fmac_f32_e32 v21, 0x3e9e377a, v12
	v_fmac_f32_e32 v24, 0x3f737871, v12
	;; [unrolled: 1-line block ×4, first 2 shown]
	v_add_f32_e32 v0, v15, v21
	v_add_f32_e32 v1, v23, v24
	v_add_f32_e32 v12, v14, v25
	v_add_f32_e32 v13, v22, v26
	ds_write2_b64 v27, v[0:1], v[12:13] offset0:60 offset1:90
	v_sub_f32_e32 v0, v144, v19
	v_sub_f32_e32 v1, v18, v20
	;; [unrolled: 1-line block ×6, first 2 shown]
	ds_write2_b64 v27, v[2:3], v[0:1] offset0:120 offset1:150
	v_sub_f32_e32 v0, v11, v7
	v_sub_f32_e32 v1, v143, v9
	;; [unrolled: 1-line block ×6, first 2 shown]
	ds_write2_b64 v27, v[0:1], v[2:3] offset0:180 offset1:210
	v_sub_f32_e32 v2, v8, v4
	buffer_load_dword v4, off, s[20:23], 0 offset:320 ; 4-byte Folded Reload
	v_sub_f32_e32 v0, v14, v25
	v_sub_f32_e32 v1, v22, v26
	v_sub_f32_e32 v3, v10, v5
	v_sub_f32_e32 v10, v106, v132
	v_sub_f32_e32 v22, v100, v133
	s_waitcnt vmcnt(0)
	ds_write2_b64 v4, v[0:1], v[2:3] offset0:112 offset1:142
	v_sub_f32_e32 v0, v100, v107
	v_sub_f32_e32 v1, v133, v119
	v_add_f32_e32 v3, v95, v105
	v_add_f32_e32 v2, v94, v92
	;; [unrolled: 1-line block ×3, first 2 shown]
	v_sub_f32_e32 v0, v101, v95
	v_sub_f32_e32 v1, v117, v105
	v_fma_f32 v21, -0.5, v3, v87
	v_add_f32_e32 v2, v2, v104
	v_add_f32_e32 v5, v0, v1
	v_sub_f32_e32 v0, v106, v118
	v_sub_f32_e32 v1, v132, v125
	v_fmamk_f32 v23, v22, 0x3f737871, v21
	v_add_f32_e32 v2, v2, v116
	v_fmac_f32_e32 v21, 0xbf737871, v22
	v_add_f32_e32 v6, v0, v1
	v_sub_f32_e32 v0, v92, v104
	v_sub_f32_e32 v1, v131, v116
	v_fmac_f32_e32 v23, 0x3f167918, v24
	v_add_f32_e32 v27, v2, v131
	v_fmac_f32_e32 v21, 0xbf167918, v24
	v_add_f32_e32 v7, v0, v1
	v_add_f32_e32 v0, v118, v125
	v_fmac_f32_e32 v23, 0x3e9e377a, v5
	v_fmac_f32_e32 v21, 0x3e9e377a, v5
	v_fma_f32 v8, -0.5, v0, v93
	v_add_f32_e32 v0, v104, v116
	v_fmamk_f32 v1, v12, 0xbf737871, v8
	v_fma_f32 v9, -0.5, v0, v94
	v_fmac_f32_e32 v8, 0x3f737871, v12
	v_fmac_f32_e32 v1, 0xbf167918, v13
	v_fmamk_f32 v0, v10, 0x3f737871, v9
	v_fmac_f32_e32 v9, 0xbf737871, v10
	v_fmac_f32_e32 v8, 0x3f167918, v13
	v_fmac_f32_e32 v1, 0x3e9e377a, v6
	v_fmac_f32_e32 v0, 0x3f167918, v11
	v_fmac_f32_e32 v9, 0xbf167918, v11
	v_fmac_f32_e32 v8, 0x3e9e377a, v6
	v_fmac_f32_e32 v0, 0x3e9e377a, v7
	v_fmac_f32_e32 v9, 0x3e9e377a, v7
	v_mul_f32_e32 v14, 0xbf167918, v0
	v_mul_f32_e32 v15, 0x3f4f1bbd, v0
	v_add_f32_e32 v0, v86, v100
	v_mul_f32_e32 v5, 0xbf4f1bbd, v9
	v_fmac_f32_e32 v14, 0x3f4f1bbd, v1
	v_fmac_f32_e32 v15, 0x3f167918, v1
	v_add_f32_e32 v0, v0, v107
	v_add_f32_e32 v1, v93, v106
	v_fmac_f32_e32 v5, 0x3f167918, v8
	v_add_f32_e32 v3, v23, v15
	v_add_f32_e32 v0, v0, v119
	;; [unrolled: 1-line block ×6, first 2 shown]
	v_fma_f32 v17, -0.5, v0, v86
	v_add_f32_e32 v0, v87, v101
	v_add_f32_e32 v26, v1, v132
	v_fmamk_f32 v19, v18, 0xbf737871, v17
	v_add_f32_e32 v0, v0, v95
	v_fmac_f32_e32 v17, 0x3f737871, v18
	v_fmac_f32_e32 v19, 0xbf167918, v20
	v_add_f32_e32 v0, v0, v105
	v_fmac_f32_e32 v17, 0x3f167918, v20
	v_fmac_f32_e32 v19, 0x3e9e377a, v4
	v_add_f32_e32 v25, v0, v117
	v_add_f32_e32 v0, v16, v26
	v_fmac_f32_e32 v17, 0x3e9e377a, v4
	v_mul_f32_e32 v4, 0xbf167918, v9
	v_add_f32_e32 v2, v19, v14
	v_add_f32_e32 v1, v25, v27
	v_fmac_f32_e32 v4, 0xbf4f1bbd, v8
	ds_write2_b64 v35, v[0:1], v[2:3] offset1:30
	v_add_f32_e32 v2, v100, v133
	v_sub_f32_e32 v0, v107, v100
	v_sub_f32_e32 v1, v119, v133
	v_add_f32_e32 v3, v101, v117
	v_fma_f32 v29, -0.5, v2, v86
	v_add_f32_e32 v2, v106, v132
	v_add_f32_e32 v0, v0, v1
	v_sub_f32_e32 v1, v95, v101
	v_fmac_f32_e32 v87, -0.5, v3
	v_fmamk_f32 v30, v20, 0x3f737871, v29
	v_fmac_f32_e32 v29, 0xbf737871, v20
	v_sub_f32_e32 v3, v125, v132
	v_fmac_f32_e32 v93, -0.5, v2
	v_sub_f32_e32 v2, v116, v131
	v_fmac_f32_e32 v30, 0xbf167918, v18
	v_fmac_f32_e32 v29, 0x3f167918, v18
	v_sub_f32_e32 v20, v99, v109
	v_fmac_f32_e32 v30, 0x3e9e377a, v0
	v_fmac_f32_e32 v29, 0x3e9e377a, v0
	v_add_f32_e32 v0, v1, v28
	v_fmamk_f32 v28, v24, 0xbf737871, v87
	v_fmac_f32_e32 v87, 0x3f737871, v24
	v_sub_f32_e32 v1, v118, v106
	v_fmac_f32_e32 v28, 0x3f167918, v22
	v_fmac_f32_e32 v87, 0xbf167918, v22
	v_sub_f32_e32 v22, v90, v128
	v_fmac_f32_e32 v28, 0x3e9e377a, v0
	v_fmac_f32_e32 v87, 0x3e9e377a, v0
	v_add_f32_e32 v0, v1, v3
	v_add_f32_e32 v1, v92, v131
	v_fmamk_f32 v3, v13, 0x3f737871, v93
	v_fmac_f32_e32 v93, 0xbf737871, v13
	v_sub_f32_e32 v13, v111, v124
	v_fmac_f32_e32 v94, -0.5, v1
	v_sub_f32_e32 v1, v104, v92
	v_fmac_f32_e32 v3, 0xbf167918, v12
	v_fmac_f32_e32 v93, 0x3f167918, v12
	v_sub_f32_e32 v12, v98, v130
	v_fmac_f32_e32 v3, 0x3e9e377a, v0
	v_fmac_f32_e32 v93, 0x3e9e377a, v0
	v_add_f32_e32 v0, v1, v2
	v_fmamk_f32 v1, v11, 0xbf737871, v94
	v_fmac_f32_e32 v94, 0x3f737871, v11
	v_sub_f32_e32 v11, v110, v126
	v_fmac_f32_e32 v1, 0x3f167918, v10
	v_fmac_f32_e32 v94, 0xbf167918, v10
	v_sub_f32_e32 v10, v97, v129
	v_fmac_f32_e32 v1, 0x3e9e377a, v0
	v_fmac_f32_e32 v94, 0x3e9e377a, v0
	v_mul_f32_e32 v31, 0xbf737871, v1
	v_mul_f32_e32 v32, 0x3e9e377a, v1
	;; [unrolled: 1-line block ×4, first 2 shown]
	v_fmac_f32_e32 v31, 0x3e9e377a, v3
	v_fmac_f32_e32 v32, 0x3f737871, v3
	;; [unrolled: 1-line block ×4, first 2 shown]
	v_add_f32_e32 v0, v30, v31
	v_add_f32_e32 v1, v28, v32
	;; [unrolled: 1-line block ×4, first 2 shown]
	ds_write2_b64 v35, v[0:1], v[2:3] offset0:60 offset1:90
	v_sub_f32_e32 v0, v16, v26
	v_sub_f32_e32 v1, v25, v27
	v_add_f32_e32 v2, v17, v4
	v_add_f32_e32 v3, v21, v5
	ds_write2_b64 v35, v[2:3], v[0:1] offset0:120 offset1:150
	v_sub_f32_e32 v0, v19, v14
	v_sub_f32_e32 v1, v23, v15
	;; [unrolled: 1-line block ×7, first 2 shown]
	v_add_f32_e32 v30, v98, v130
	ds_write2_b64 v35, v[0:1], v[2:3] offset0:180 offset1:210
	v_sub_f32_e32 v2, v17, v4
	buffer_load_dword v4, off, s[20:23], 0 offset:300 ; 4-byte Folded Reload
	v_sub_f32_e32 v1, v87, v34
	v_sub_f32_e32 v0, v29, v33
	;; [unrolled: 1-line block ×3, first 2 shown]
	v_add_f32_e32 v17, v96, v108
	v_sub_f32_e32 v29, v111, v98
	v_sub_f32_e32 v31, v124, v130
	v_fma_f32 v17, -0.5, v17, v82
	v_fmamk_f32 v21, v19, 0xbf737871, v17
	v_fmac_f32_e32 v17, 0x3f737871, v19
	v_fmac_f32_e32 v21, 0xbf167918, v20
	;; [unrolled: 1-line block ×3, first 2 shown]
	s_waitcnt vmcnt(0)
	ds_write2_b64 v4, v[0:1], v[2:3] offset0:112 offset1:142
	v_sub_f32_e32 v0, v90, v96
	v_sub_f32_e32 v1, v128, v108
	v_add_f32_e32 v2, v88, v97
	v_add_f32_e32 v3, v89, v98
	;; [unrolled: 1-line block ×3, first 2 shown]
	v_sub_f32_e32 v0, v91, v99
	v_sub_f32_e32 v1, v127, v109
	v_add_f32_e32 v2, v2, v110
	v_add_f32_e32 v3, v3, v111
	v_fmac_f32_e32 v21, 0x3e9e377a, v4
	v_fmac_f32_e32 v17, 0x3e9e377a, v4
	v_add_f32_e32 v5, v0, v1
	v_sub_f32_e32 v0, v97, v110
	v_sub_f32_e32 v1, v129, v126
	v_add_f32_e32 v2, v2, v126
	v_add_f32_e32 v3, v3, v124
	;; [unrolled: 1-line block ×3, first 2 shown]
	v_sub_f32_e32 v0, v98, v111
	v_sub_f32_e32 v1, v130, v124
	v_add_f32_e32 v26, v2, v129
	v_add_f32_e32 v27, v3, v130
	;; [unrolled: 1-line block ×4, first 2 shown]
	v_fma_f32 v8, -0.5, v0, v88
	v_add_f32_e32 v0, v111, v124
	v_fmamk_f32 v1, v12, 0xbf737871, v8
	v_fma_f32 v9, -0.5, v0, v89
	v_fmac_f32_e32 v89, -0.5, v30
	v_fmac_f32_e32 v8, 0x3f737871, v12
	v_fmac_f32_e32 v1, 0xbf167918, v13
	v_fmamk_f32 v0, v10, 0x3f737871, v9
	v_fmac_f32_e32 v9, 0xbf737871, v10
	v_fmac_f32_e32 v8, 0x3f167918, v13
	;; [unrolled: 1-line block ×8, first 2 shown]
	v_mul_f32_e32 v14, 0xbf167918, v0
	v_mul_f32_e32 v15, 0x3f4f1bbd, v0
	v_add_f32_e32 v0, v99, v109
	v_mul_f32_e32 v4, 0xbf167918, v9
	v_fmac_f32_e32 v14, 0x3f4f1bbd, v1
	v_fmac_f32_e32 v15, 0x3f167918, v1
	v_fma_f32 v16, -0.5, v0, v83
	v_add_f32_e32 v0, v82, v90
	v_add_f32_e32 v1, v83, v91
	;; [unrolled: 1-line block ×3, first 2 shown]
	v_fmac_f32_e32 v4, 0xbf4f1bbd, v8
	v_fmamk_f32 v24, v22, 0x3f737871, v16
	v_add_f32_e32 v0, v0, v96
	v_add_f32_e32 v1, v1, v99
	v_fmac_f32_e32 v16, 0xbf737871, v22
	v_fmac_f32_e32 v24, 0x3f167918, v23
	v_add_f32_e32 v0, v0, v108
	v_add_f32_e32 v1, v1, v109
	v_fmac_f32_e32 v16, 0xbf167918, v23
	v_fmac_f32_e32 v24, 0x3e9e377a, v5
	v_add_f32_e32 v18, v0, v128
	v_add_f32_e32 v25, v1, v127
	v_fmac_f32_e32 v16, 0x3e9e377a, v5
	v_mul_f32_e32 v5, 0xbf4f1bbd, v9
	v_add_f32_e32 v3, v24, v15
	v_add_f32_e32 v0, v18, v26
	;; [unrolled: 1-line block ×3, first 2 shown]
	v_fmac_f32_e32 v5, 0x3f167918, v8
	ds_write2_b64 v36, v[0:1], v[2:3] offset1:30
	v_add_f32_e32 v0, v91, v127
	v_sub_f32_e32 v1, v109, v127
	v_sub_f32_e32 v2, v110, v97
	v_add_f32_e32 v3, v97, v129
	v_fmac_f32_e32 v83, -0.5, v0
	v_sub_f32_e32 v0, v99, v91
	v_fmac_f32_e32 v88, -0.5, v3
	v_sub_f32_e32 v3, v96, v90
	v_fmamk_f32 v34, v23, 0xbf737871, v83
	v_add_f32_e32 v0, v0, v1
	v_add_f32_e32 v1, v2, v28
	v_sub_f32_e32 v28, v108, v128
	v_add_f32_e32 v2, v29, v31
	v_add_f32_e32 v29, v90, v128
	v_fmamk_f32 v30, v13, 0x3f737871, v88
	v_fmac_f32_e32 v88, 0xbf737871, v13
	v_add_f32_e32 v3, v3, v28
	v_fmamk_f32 v28, v11, 0xbf737871, v89
	v_fmac_f32_e32 v89, 0x3f737871, v11
	v_fma_f32 v29, -0.5, v29, v82
	v_fmac_f32_e32 v88, 0x3f167918, v12
	v_fmac_f32_e32 v83, 0x3f737871, v23
	;; [unrolled: 1-line block ×4, first 2 shown]
	v_fmamk_f32 v33, v20, 0x3f737871, v29
	v_fmac_f32_e32 v29, 0xbf737871, v20
	v_fmac_f32_e32 v30, 0xbf167918, v12
	;; [unrolled: 1-line block ×8, first 2 shown]
	v_mul_f32_e32 v31, 0xbe9e377a, v89
	v_mul_f32_e32 v32, 0xbf737871, v89
	v_fmac_f32_e32 v34, 0x3f167918, v22
	v_fmac_f32_e32 v30, 0x3e9e377a, v1
	v_mul_f32_e32 v35, 0xbf737871, v28
	v_mul_f32_e32 v28, 0x3e9e377a, v28
	v_fmac_f32_e32 v31, 0x3f737871, v88
	v_fmac_f32_e32 v32, 0xbe9e377a, v88
	v_fmac_f32_e32 v29, 0x3e9e377a, v3
	v_fmac_f32_e32 v33, 0x3e9e377a, v3
	v_fmac_f32_e32 v83, 0x3e9e377a, v0
	v_fmac_f32_e32 v34, 0x3e9e377a, v0
	v_fmac_f32_e32 v35, 0x3e9e377a, v30
	v_fmac_f32_e32 v28, 0x3f737871, v30
	v_add_f32_e32 v0, v29, v32
	v_add_f32_e32 v1, v83, v31
	;; [unrolled: 1-line block ×4, first 2 shown]
	ds_write2_b64 v36, v[2:3], v[0:1] offset0:60 offset1:90
	v_sub_f32_e32 v0, v18, v26
	v_sub_f32_e32 v1, v25, v27
	v_add_f32_e32 v2, v17, v4
	v_add_f32_e32 v3, v16, v5
	ds_write2_b64 v36, v[2:3], v[0:1] offset0:120 offset1:150
	v_sub_f32_e32 v0, v21, v14
	v_sub_f32_e32 v1, v24, v15
	;; [unrolled: 1-line block ×4, first 2 shown]
	ds_write2_b64 v36, v[0:1], v[2:3] offset0:180 offset1:210
	v_sub_f32_e32 v2, v17, v4
	buffer_load_dword v4, off, s[20:23], 0 offset:292 ; 4-byte Folded Reload
	v_sub_f32_e32 v1, v83, v31
	v_sub_f32_e32 v0, v29, v32
	;; [unrolled: 1-line block ×3, first 2 shown]
	v_add_nc_u32_e32 v83, 0x1c00, v229
	s_waitcnt vmcnt(0)
	ds_write2_b64 v4, v[0:1], v[2:3] offset0:112 offset1:142
	s_waitcnt lgkmcnt(0)
	s_barrier
	buffer_gl0_inv
	ds_read2_b64 v[0:3], v199 offset0:132 offset1:222
	s_clause 0x3
	buffer_load_dword v6, off, s[20:23], 0 offset:304
	buffer_load_dword v7, off, s[20:23], 0 offset:308
	;; [unrolled: 1-line block ×4, first 2 shown]
	s_waitcnt lgkmcnt(0)
	v_mul_f32_e32 v80, v220, v3
	v_fmac_f32_e32 v80, v219, v2
	s_waitcnt vmcnt(2)
	v_mul_f32_e32 v25, v7, v1
	v_fmac_f32_e32 v25, v6, v0
	v_mul_f32_e32 v0, v7, v0
	v_fma_f32 v26, v6, v1, -v0
	ds_read2_b64 v[4:7], v189 offset0:8 offset1:98
	s_waitcnt vmcnt(0) lgkmcnt(0)
	v_mul_f32_e32 v0, v9, v4
	v_mul_f32_e32 v27, v9, v5
	v_mul_f32_e32 v47, v222, v7
	v_fma_f32 v30, v8, v5, -v0
	v_mul_f32_e32 v0, v220, v2
	v_fmac_f32_e32 v27, v8, v4
	v_fmac_f32_e32 v47, v221, v6
	v_sub_f32_e32 v82, v26, v30
	v_fma_f32 v46, v219, v3, -v0
	v_mul_f32_e32 v0, v222, v6
	v_fma_f32 v48, v221, v7, -v0
	ds_read2_b64 v[0:3], v191 offset0:56 offset1:146
	s_clause 0x3
	buffer_load_dword v6, off, s[20:23], 0 offset:348
	buffer_load_dword v7, off, s[20:23], 0 offset:352
	;; [unrolled: 1-line block ×4, first 2 shown]
	s_waitcnt lgkmcnt(0)
	v_mul_f32_e32 v53, v212, v3
	v_fmac_f32_e32 v53, v211, v2
	s_waitcnt vmcnt(2)
	v_mul_f32_e32 v49, v7, v1
	v_fmac_f32_e32 v49, v6, v0
	v_mul_f32_e32 v0, v7, v0
	v_fma_f32 v50, v6, v1, -v0
	ds_read2_b64 v[4:7], v178 offset0:60 offset1:150
	s_waitcnt vmcnt(0) lgkmcnt(0)
	v_mul_f32_e32 v0, v9, v4
	v_mul_f32_e32 v51, v9, v5
	v_mul_f32_e32 v55, v214, v7
	v_fma_f32 v52, v8, v5, -v0
	v_mul_f32_e32 v0, v212, v2
	v_fmac_f32_e32 v51, v8, v4
	v_fmac_f32_e32 v55, v213, v6
	v_fma_f32 v54, v211, v3, -v0
	v_mul_f32_e32 v0, v214, v6
	v_fma_f32 v56, v213, v7, -v0
	ds_read2_b64 v[0:3], v179 offset0:108 offset1:198
	s_clause 0x3
	buffer_load_dword v13, off, s[20:23], 0 offset:368
	buffer_load_dword v14, off, s[20:23], 0 offset:372
	buffer_load_dword v15, off, s[20:23], 0 offset:376
	buffer_load_dword v16, off, s[20:23], 0 offset:380
	s_waitcnt lgkmcnt(0)
	v_mul_f32_e32 v57, v216, v3
	v_fmac_f32_e32 v57, v215, v2
	s_waitcnt vmcnt(2)
	v_mul_f32_e32 v4, v14, v1
	v_fmac_f32_e32 v4, v13, v0
	v_mul_f32_e32 v0, v14, v0
	v_fma_f32 v8, v13, v1, -v0
	ds_read2_b64 v[11:14], v224 offset0:112 offset1:202
	s_waitcnt vmcnt(0) lgkmcnt(0)
	v_mul_f32_e32 v0, v16, v11
	v_mul_f32_e32 v9, v16, v12
	ds_read2_b64 v[16:19], v61 offset0:36 offset1:126
	v_fma_f32 v12, v15, v12, -v0
	v_mul_f32_e32 v0, v216, v2
	v_fmac_f32_e32 v9, v15, v11
	v_mul_f32_e32 v15, v218, v14
	v_fma_f32 v58, v215, v3, -v0
	v_mul_f32_e32 v0, v218, v13
	v_fmac_f32_e32 v15, v217, v13
	v_fma_f32 v28, v217, v14, -v0
	ds_read2_b64 v[0:3], v62 offset0:160 offset1:250
	s_clause 0x3
	buffer_load_dword v20, off, s[20:23], 0 offset:332
	buffer_load_dword v21, off, s[20:23], 0 offset:336
	;; [unrolled: 1-line block ×4, first 2 shown]
	s_waitcnt lgkmcnt(1)
	v_mul_f32_e32 v29, v254, v17
	v_fmac_f32_e32 v29, v253, v16
	s_waitcnt lgkmcnt(0)
	v_mul_f32_e32 v11, v252, v1
	v_fmac_f32_e32 v11, v251, v0
	v_mul_f32_e32 v0, v252, v0
	v_fma_f32 v59, v251, v1, -v0
	v_mul_f32_e32 v0, v254, v16
	v_fma_f32 v81, v253, v17, -v0
	s_waitcnt vmcnt(2)
	v_mul_f32_e32 v0, v21, v2
	s_waitcnt vmcnt(0)
	v_mul_f32_e32 v1, v23, v18
	v_mul_f32_e32 v13, v21, v3
	v_fma_f32 v24, v20, v3, -v0
	v_mul_f32_e32 v0, v23, v19
	v_fma_f32 v1, v22, v19, -v1
	v_fmac_f32_e32 v13, v20, v2
	v_fmac_f32_e32 v0, v22, v18
	ds_read2_b64 v[16:19], v201 offset0:84 offset1:174
	s_clause 0x3
	buffer_load_dword v31, off, s[20:23], 0 offset:400
	buffer_load_dword v32, off, s[20:23], 0 offset:404
	;; [unrolled: 1-line block ×4, first 2 shown]
	ds_read2_b64 v[20:23], v203 offset0:88 offset1:178
	s_waitcnt vmcnt(2) lgkmcnt(1)
	v_mul_f32_e32 v2, v32, v16
	v_mul_f32_e32 v3, v32, v17
	s_waitcnt vmcnt(0) lgkmcnt(0)
	v_mul_f32_e32 v5, v34, v20
	v_fma_f32 v6, v31, v17, -v2
	v_mul_f32_e32 v2, v34, v21
	v_fmac_f32_e32 v3, v31, v16
	v_fma_f32 v5, v33, v21, -v5
	v_fmac_f32_e32 v2, v33, v20
	s_clause 0x3
	buffer_load_dword v31, off, s[20:23], 0 offset:384
	buffer_load_dword v32, off, s[20:23], 0 offset:388
	;; [unrolled: 1-line block ×4, first 2 shown]
	s_waitcnt vmcnt(2)
	v_mul_f32_e32 v14, v32, v19
	v_mul_f32_e32 v7, v32, v18
	s_waitcnt vmcnt(0)
	v_mul_f32_e32 v10, v34, v22
	v_fmac_f32_e32 v14, v31, v18
	v_fma_f32 v16, v31, v19, -v7
	ds_read2_b64 v[17:20], v229 offset1:90
	v_mul_f32_e32 v7, v34, v23
	v_fma_f32 v10, v33, v23, -v10
	v_add_f32_e32 v23, v26, v30
	v_fmac_f32_e32 v7, v33, v22
	s_waitcnt lgkmcnt(0)
	v_add_f32_e32 v21, v18, v26
	v_add_f32_e32 v26, v25, v27
	v_fma_f32 v18, -0.5, v23, v18
	v_sub_f32_e32 v23, v25, v27
	v_add_f32_e32 v22, v21, v30
	v_add_f32_e32 v21, v17, v25
	v_fma_f32 v17, -0.5, v26, v17
	ds_read2_b64 v[30:33], v197 offset0:52 offset1:142
	ds_read2_b64 v[34:37], v255 offset0:104 offset1:194
	;; [unrolled: 1-line block ×4, first 2 shown]
	v_fmamk_f32 v26, v23, 0x3f5db3d7, v18
	v_fmac_f32_e32 v18, 0xbf5db3d7, v23
	s_waitcnt lgkmcnt(0)
	v_fmamk_f32 v25, v82, 0xbf5db3d7, v17
	v_fmac_f32_e32 v17, 0x3f5db3d7, v82
	s_barrier
	buffer_gl0_inv
	v_add_f32_e32 v21, v21, v27
	ds_write_b64 v229, v[25:26] offset:2400
	ds_write_b64 v229, v[17:18] offset:4800
	v_add_f32_e32 v17, v19, v80
	v_add_f32_e32 v18, v20, v46
	v_sub_f32_e32 v23, v80, v47
	v_sub_f32_e32 v26, v50, v52
	;; [unrolled: 1-line block ×3, first 2 shown]
	v_add_f32_e32 v17, v17, v47
	v_add_f32_e32 v18, v18, v48
	ds_write2_b64 v229, v[21:22], v[17:18] offset1:90
	v_add_f32_e32 v17, v30, v49
	v_add_f32_e32 v18, v31, v50
	;; [unrolled: 1-line block ×5, first 2 shown]
	v_fma_f32 v21, -0.5, v21, v30
	ds_write_b64 v229, v[17:18] offset:1440
	v_add_f32_e32 v17, v80, v47
	v_sub_f32_e32 v18, v46, v48
	v_fmamk_f32 v25, v26, 0xbf5db3d7, v21
	v_fmac_f32_e32 v21, 0x3f5db3d7, v26
	v_fma_f32 v19, -0.5, v17, v19
	v_add_f32_e32 v17, v46, v48
	v_fmac_f32_e32 v20, -0.5, v17
	v_fmamk_f32 v17, v18, 0xbf5db3d7, v19
	v_fmac_f32_e32 v19, 0x3f5db3d7, v18
	v_add_f32_e32 v18, v50, v52
	v_fma_f32 v22, -0.5, v18, v31
	v_fmamk_f32 v18, v23, 0x3f5db3d7, v20
	v_fmac_f32_e32 v20, 0xbf5db3d7, v23
	v_add_f32_e32 v23, v36, v57
	v_fmamk_f32 v26, v27, 0x3f5db3d7, v22
	v_fmac_f32_e32 v22, 0xbf5db3d7, v27
	ds_write2_b64 v63, v[19:20], v[21:22] offset0:50 offset1:140
	ds_write2_b64 v255, v[17:18], v[25:26] offset0:134 offset1:224
	v_add_f32_e32 v17, v53, v55
	v_add_f32_e32 v19, v32, v53
	;; [unrolled: 1-line block ×3, first 2 shown]
	v_sub_f32_e32 v18, v54, v56
	v_sub_f32_e32 v21, v53, v55
	v_fma_f32 v32, -0.5, v17, v32
	v_add_f32_e32 v17, v54, v56
	v_add_f32_e32 v19, v19, v55
	;; [unrolled: 1-line block ×4, first 2 shown]
	v_sub_f32_e32 v22, v58, v28
	v_fmac_f32_e32 v33, -0.5, v17
	v_fmamk_f32 v17, v18, 0xbf5db3d7, v32
	v_fmac_f32_e32 v32, 0x3f5db3d7, v18
	v_sub_f32_e32 v26, v57, v15
	v_fmamk_f32 v18, v21, 0x3f5db3d7, v33
	v_fmac_f32_e32 v33, 0xbf5db3d7, v21
	buffer_load_dword v21, off, s[20:23], 0 offset:264 ; 4-byte Folded Reload
	s_waitcnt vmcnt(0)
	ds_write_b64 v21, v[32:33] offset:4800
	ds_write_b64 v21, v[19:20]
	ds_write_b64 v21, v[17:18] offset:2400
	v_add_f32_e32 v17, v4, v9
	v_add_f32_e32 v18, v8, v12
	v_sub_f32_e32 v20, v8, v12
	v_sub_f32_e32 v21, v4, v9
	v_add_f32_e32 v4, v34, v4
	v_fma_f32 v17, -0.5, v17, v34
	v_fma_f32 v18, -0.5, v18, v35
	v_fmamk_f32 v19, v20, 0xbf5db3d7, v17
	v_fmac_f32_e32 v17, 0x3f5db3d7, v20
	v_fmamk_f32 v20, v21, 0x3f5db3d7, v18
	v_fmac_f32_e32 v18, 0xbf5db3d7, v21
	v_add_f32_e32 v21, v57, v15
	v_fma_f32 v36, -0.5, v21, v36
	v_add_f32_e32 v21, v58, v28
	v_fmac_f32_e32 v37, -0.5, v21
	v_fmamk_f32 v21, v22, 0xbf5db3d7, v36
	v_fmac_f32_e32 v36, 0x3f5db3d7, v22
	v_fmamk_f32 v22, v26, 0x3f5db3d7, v37
	v_fmac_f32_e32 v37, 0xbf5db3d7, v26
	ds_write2_b64 v201, v[17:18], v[36:37] offset0:24 offset1:114
	v_add_f32_e32 v17, v35, v8
	v_add_f32_e32 v8, v4, v9
	;; [unrolled: 1-line block ×6, first 2 shown]
	ds_write2_b64 v83, v[8:9], v[17:18] offset0:64 offset1:154
	ds_write2_b64 v179, v[19:20], v[21:22] offset0:108 offset1:198
	s_clause 0x2
	buffer_load_dword v17, off, s[20:23], 0 offset:272
	buffer_load_dword v21, off, s[20:23], 0 offset:364
	;; [unrolled: 1-line block ×3, first 2 shown]
	v_add_f32_e32 v9, v39, v59
	v_add_f32_e32 v8, v4, v29
	v_add_f32_e32 v4, v59, v81
	v_sub_f32_e32 v15, v59, v81
	v_add_f32_e32 v19, v41, v24
	v_add_f32_e32 v9, v9, v81
	;; [unrolled: 1-line block ×3, first 2 shown]
	s_waitcnt vmcnt(2)
	ds_write_b64 v17, v[8:9]
	v_add_f32_e32 v8, v11, v29
	v_fma_f32 v9, -0.5, v4, v39
	v_sub_f32_e32 v4, v11, v29
	v_fma_f32 v8, -0.5, v8, v38
	v_fmamk_f32 v12, v4, 0x3f5db3d7, v9
	v_fmac_f32_e32 v9, 0xbf5db3d7, v4
	v_add_f32_e32 v4, v13, v0
	v_fmamk_f32 v11, v15, 0xbf5db3d7, v8
	v_fmac_f32_e32 v8, 0x3f5db3d7, v15
	v_add_f32_e32 v15, v40, v13
	v_fma_f32 v40, -0.5, v4, v40
	v_add_f32_e32 v4, v24, v1
	ds_write_b64 v17, v[8:9] offset:4800
	ds_write_b64 v17, v[11:12] offset:2400
	v_sub_f32_e32 v12, v6, v5
	v_fmac_f32_e32 v41, -0.5, v4
	v_sub_f32_e32 v4, v24, v1
	v_add_f32_e32 v1, v19, v1
	v_fmamk_f32 v8, v4, 0xbf5db3d7, v40
	v_fmac_f32_e32 v40, 0x3f5db3d7, v4
	v_sub_f32_e32 v4, v13, v0
	v_add_f32_e32 v13, v44, v14
	v_add_f32_e32 v0, v15, v0
	v_fmamk_f32 v9, v4, 0x3f5db3d7, v41
	v_fmac_f32_e32 v41, 0xbf5db3d7, v4
	v_add_f32_e32 v4, v3, v2
	s_waitcnt vmcnt(1)
	ds_write_b64 v21, v[40:41] offset:19200
	v_fma_f32 v11, -0.5, v4, v42
	v_add_f32_e32 v4, v6, v5
	v_fmamk_f32 v17, v12, 0xbf5db3d7, v11
	v_fmac_f32_e32 v11, 0x3f5db3d7, v12
	v_fma_f32 v12, -0.5, v4, v43
	v_sub_f32_e32 v4, v3, v2
	v_add_f32_e32 v3, v42, v3
	v_fmamk_f32 v18, v4, 0x3f5db3d7, v12
	v_fmac_f32_e32 v12, 0xbf5db3d7, v4
	v_add_f32_e32 v4, v14, v7
	s_waitcnt vmcnt(0)
	ds_write_b64 v22, v[11:12] offset:19200
	v_fma_f32 v44, -0.5, v4, v44
	v_add_f32_e32 v4, v16, v10
	v_fmac_f32_e32 v45, -0.5, v4
	v_sub_f32_e32 v4, v16, v10
	v_fmamk_f32 v11, v4, 0xbf5db3d7, v44
	v_fmac_f32_e32 v44, 0x3f5db3d7, v4
	v_sub_f32_e32 v4, v14, v7
	v_fmamk_f32 v12, v4, 0x3f5db3d7, v45
	v_fmac_f32_e32 v45, 0xbf5db3d7, v4
	v_add_f32_e32 v4, v43, v6
	buffer_load_dword v6, off, s[20:23], 0 offset:268 ; 4-byte Folded Reload
	s_waitcnt vmcnt(0)
	ds_write_b64 v6, v[44:45] offset:19200
	ds_write_b64 v21, v[0:1] offset:14400
	;; [unrolled: 1-line block ×3, first 2 shown]
	v_add_f32_e32 v0, v3, v2
	v_add_f32_e32 v1, v4, v5
	ds_write_b64 v22, v[0:1] offset:14400
	ds_write_b64 v22, v[17:18] offset:16800
	v_add_f32_e32 v0, v13, v7
	v_add_f32_e32 v1, v20, v10
	ds_write_b64 v6, v[0:1] offset:14400
	ds_write_b64 v6, v[11:12] offset:16800
	s_waitcnt lgkmcnt(0)
	s_barrier
	buffer_gl0_inv
	ds_read2_b64 v[0:3], v199 offset0:132 offset1:222
	ds_read2_b64 v[4:7], v189 offset0:8 offset1:98
	s_clause 0x3
	buffer_load_dword v8, off, s[20:23], 0 offset:276
	buffer_load_dword v9, off, s[20:23], 0 offset:280
	;; [unrolled: 1-line block ×4, first 2 shown]
	ds_read2_b64 v[19:22], v224 offset0:112 offset1:202
	ds_read2_b64 v[23:26], v61 offset0:36 offset1:126
	s_waitcnt lgkmcnt(3)
	v_mul_f32_e32 v27, v240, v1
	s_waitcnt lgkmcnt(2)
	v_mul_f32_e32 v29, v242, v5
	;; [unrolled: 2-line block ×3, first 2 shown]
	v_fmac_f32_e32 v27, v239, v0
	v_mul_f32_e32 v0, v240, v0
	v_fmac_f32_e32 v29, v241, v4
	v_fma_f32 v15, v70, v24, -v15
	v_fma_f32 v28, v239, v1, -v0
	v_mul_f32_e32 v0, v242, v4
	v_fma_f32 v30, v241, v5, -v0
	s_waitcnt vmcnt(2)
	v_mul_f32_e32 v0, v9, v2
	v_mul_f32_e32 v41, v9, v3
	s_waitcnt vmcnt(0)
	v_mul_f32_e32 v43, v11, v7
	v_fma_f32 v42, v8, v3, -v0
	v_mul_f32_e32 v0, v11, v6
	v_fmac_f32_e32 v41, v8, v2
	v_fmac_f32_e32 v43, v10, v6
	v_mul_f32_e32 v6, v79, v19
	v_fma_f32 v44, v10, v7, -v0
	ds_read2_b64 v[0:3], v191 offset0:56 offset1:146
	ds_read2_b64 v[8:11], v178 offset0:60 offset1:150
	v_fma_f32 v6, v78, v20, -v6
	s_waitcnt lgkmcnt(1)
	v_mul_f32_e32 v5, v73, v1
	v_mul_f32_e32 v14, v194, v3
	v_fmac_f32_e32 v5, v72, v0
	v_mul_f32_e32 v0, v73, v0
	v_fmac_f32_e32 v14, v193, v2
	v_mul_f32_e32 v2, v194, v2
	v_fma_f32 v7, v72, v1, -v0
	s_waitcnt lgkmcnt(0)
	v_mul_f32_e32 v1, v75, v8
	v_fma_f32 v18, v193, v3, -v2
	v_mul_f32_e32 v2, v196, v11
	v_mul_f32_e32 v3, v196, v10
	;; [unrolled: 1-line block ×3, first 2 shown]
	v_fma_f32 v1, v74, v9, -v1
	v_fmac_f32_e32 v2, v195, v10
	v_fma_f32 v3, v195, v11, -v3
	ds_read2_b64 v[9:12], v179 offset0:108 offset1:198
	v_fmac_f32_e32 v0, v74, v8
	s_waitcnt lgkmcnt(0)
	v_mul_f32_e32 v8, v77, v10
	v_mul_f32_e32 v4, v77, v9
	;; [unrolled: 1-line block ×3, first 2 shown]
	v_fmac_f32_e32 v8, v76, v9
	v_mul_f32_e32 v9, v182, v11
	v_fma_f32 v10, v76, v10, -v4
	v_mul_f32_e32 v4, v79, v20
	v_fmac_f32_e32 v45, v181, v11
	v_mul_f32_e32 v11, v184, v21
	v_fma_f32 v46, v181, v12, -v9
	v_mul_f32_e32 v9, v184, v22
	v_fmac_f32_e32 v4, v78, v19
	v_fma_f32 v11, v183, v22, -v11
	v_fmac_f32_e32 v9, v183, v21
	ds_read2_b64 v[19:22], v62 offset0:160 offset1:250
	s_waitcnt lgkmcnt(0)
	v_mul_f32_e32 v12, v69, v20
	v_mul_f32_e32 v13, v69, v19
	;; [unrolled: 1-line block ×4, first 2 shown]
	v_fmac_f32_e32 v12, v68, v19
	v_mul_f32_e32 v19, v188, v25
	v_fma_f32 v16, v68, v20, -v13
	v_fmac_f32_e32 v47, v185, v21
	v_fma_f32 v48, v185, v22, -v17
	v_mul_f32_e32 v13, v71, v24
	v_fma_f32 v49, v187, v26, -v19
	ds_read2_b64 v[19:22], v201 offset0:84 offset1:174
	v_mul_f32_e32 v17, v188, v26
	v_fmac_f32_e32 v13, v70, v23
	v_fmac_f32_e32 v17, v187, v25
	ds_read2_b64 v[23:26], v203 offset0:88 offset1:178
	s_waitcnt lgkmcnt(1)
	v_mul_f32_e32 v50, v65, v20
	v_mul_f32_e32 v54, v208, v22
	v_fmac_f32_e32 v50, v64, v19
	v_mul_f32_e32 v19, v65, v19
	v_fmac_f32_e32 v54, v207, v21
	s_waitcnt lgkmcnt(0)
	v_mul_f32_e32 v52, v67, v24
	v_mul_f32_e32 v56, v210, v26
	v_fma_f32 v51, v64, v20, -v19
	v_mul_f32_e32 v19, v67, v23
	v_fmac_f32_e32 v52, v66, v23
	v_fmac_f32_e32 v56, v209, v25
	v_fma_f32 v53, v66, v24, -v19
	v_mul_f32_e32 v19, v208, v21
	v_add_f32_e32 v24, v28, v30
	v_sub_f32_e32 v59, v50, v52
	v_sub_f32_e32 v58, v51, v53
	v_fma_f32 v55, v207, v22, -v19
	v_mul_f32_e32 v19, v210, v25
	v_sub_f32_e32 v25, v28, v30
	v_fma_f32 v57, v209, v26, -v19
	ds_read2_b64 v[19:22], v229 offset1:90
	v_sub_f32_e32 v26, v27, v29
	s_waitcnt lgkmcnt(0)
	v_add_f32_e32 v23, v20, v28
	v_fma_f32 v20, -0.5, v24, v20
	v_add_f32_e32 v40, v23, v30
	v_add_f32_e32 v23, v19, v27
	v_fmamk_f32 v24, v26, 0x3f5db3d7, v20
	v_fmac_f32_e32 v20, 0xbf5db3d7, v26
	v_add_f32_e32 v39, v23, v29
	v_add_f32_e32 v23, v27, v29
	v_fma_f32 v19, -0.5, v23, v19
	v_fmamk_f32 v23, v25, 0xbf5db3d7, v19
	v_fmac_f32_e32 v19, 0x3f5db3d7, v25
	ds_write_b64 v229, v[23:24] offset:7200
	ds_write_b64 v229, v[19:20] offset:14400
	v_add_f32_e32 v19, v21, v41
	v_add_f32_e32 v20, v22, v42
	ds_read2_b64 v[23:26], v197 offset0:52 offset1:142
	ds_read2_b64 v[27:30], v255 offset0:104 offset1:194
	;; [unrolled: 1-line block ×4, first 2 shown]
	v_add_f32_e32 v19, v19, v43
	v_add_f32_e32 v20, v20, v44
	ds_write2_b64 v229, v[39:40], v[19:20] offset1:90
	v_add_f32_e32 v19, v41, v43
	v_sub_f32_e32 v20, v42, v44
	v_sub_f32_e32 v39, v41, v43
	v_add_f32_e32 v40, v7, v1
	v_sub_f32_e32 v43, v5, v0
	v_fma_f32 v21, -0.5, v19, v21
	v_add_f32_e32 v19, v42, v44
	v_sub_f32_e32 v42, v7, v1
	s_waitcnt lgkmcnt(4)
	v_fma_f32 v40, -0.5, v40, v24
	s_waitcnt lgkmcnt(2)
	v_add_f32_e32 v44, v34, v48
	v_add_f32_e32 v60, v25, v14
	v_fmac_f32_e32 v22, -0.5, v19
	v_fmamk_f32 v19, v20, 0xbf5db3d7, v21
	v_fmac_f32_e32 v21, 0x3f5db3d7, v20
	v_add_f32_e32 v61, v26, v18
	v_add_f32_e32 v62, v30, v46
	v_fmamk_f32 v20, v39, 0x3f5db3d7, v22
	v_fmac_f32_e32 v22, 0xbf5db3d7, v39
	v_add_f32_e32 v39, v5, v0
	v_add_f32_e32 v5, v23, v5
	;; [unrolled: 1-line block ×3, first 2 shown]
	v_fma_f32 v39, -0.5, v39, v23
	v_add_f32_e32 v0, v5, v0
	v_add_f32_e32 v1, v7, v1
	;; [unrolled: 1-line block ×4, first 2 shown]
	v_fmamk_f32 v41, v42, 0xbf5db3d7, v39
	v_fmac_f32_e32 v39, 0x3f5db3d7, v42
	v_fmamk_f32 v42, v43, 0x3f5db3d7, v40
	v_fmac_f32_e32 v40, 0xbf5db3d7, v43
	ds_write2_b64 v189, v[21:22], v[39:40] offset0:98 offset1:188
	ds_write2_b64 v83, v[19:20], v[41:42] offset0:94 offset1:184
	v_add_f32_e32 v19, v47, v17
	v_add_f32_e32 v43, v33, v47
	;; [unrolled: 1-line block ×3, first 2 shown]
	v_sub_f32_e32 v47, v47, v17
	v_add_nc_u32_e32 v41, 0x2c00, v229
	v_fma_f32 v33, -0.5, v19, v33
	v_add_f32_e32 v19, v48, v49
	s_waitcnt lgkmcnt(3)
	v_fma_f32 v20, -0.5, v20, v36
	v_sub_f32_e32 v48, v48, v49
	v_fmac_f32_e32 v34, -0.5, v19
	v_add_f32_e32 v19, v50, v52
	v_fmamk_f32 v21, v48, 0xbf5db3d7, v33
	v_fmamk_f32 v40, v59, 0x3f5db3d7, v20
	v_fmac_f32_e32 v33, 0x3f5db3d7, v48
	v_fmamk_f32 v22, v47, 0x3f5db3d7, v34
	v_fma_f32 v19, -0.5, v19, v35
	v_fmac_f32_e32 v34, 0xbf5db3d7, v47
	v_fmac_f32_e32 v20, 0xbf5db3d7, v59
	v_fmamk_f32 v39, v58, 0xbf5db3d7, v19
	v_fmac_f32_e32 v19, 0x3f5db3d7, v58
	ds_write2_b64 v41, v[21:22], v[39:40] offset0:122 offset1:212
	v_add_f32_e32 v21, v14, v2
	v_sub_f32_e32 v14, v14, v2
	v_add_f32_e32 v2, v60, v2
	ds_write2_b64 v226, v[33:34], v[19:20] offset0:126 offset1:216
	v_fma_f32 v25, -0.5, v21, v25
	v_add_f32_e32 v21, v18, v3
	v_sub_f32_e32 v18, v18, v3
	v_add_f32_e32 v3, v61, v3
	v_fmac_f32_e32 v26, -0.5, v21
	v_fmamk_f32 v21, v18, 0xbf5db3d7, v25
	v_fmac_f32_e32 v25, 0x3f5db3d7, v18
	v_add_f32_e32 v18, v10, v6
	v_fmamk_f32 v22, v14, 0x3f5db3d7, v26
	v_fmac_f32_e32 v26, 0xbf5db3d7, v14
	v_add_f32_e32 v14, v8, v4
	v_fma_f32 v40, -0.5, v18, v28
	v_add_f32_e32 v18, v29, v45
	v_fma_f32 v39, -0.5, v14, v27
	v_sub_f32_e32 v14, v10, v6
	v_add_f32_e32 v10, v28, v10
	v_fmamk_f32 v41, v14, 0xbf5db3d7, v39
	v_fmac_f32_e32 v39, 0x3f5db3d7, v14
	v_sub_f32_e32 v14, v8, v4
	v_add_f32_e32 v8, v27, v8
	v_fmamk_f32 v42, v14, 0x3f5db3d7, v40
	v_fmac_f32_e32 v40, 0xbf5db3d7, v14
	v_add_f32_e32 v14, v45, v9
	ds_write2_b64 v224, v[25:26], v[39:40] offset0:22 offset1:112
	v_fma_f32 v29, -0.5, v14, v29
	v_add_f32_e32 v14, v46, v11
	v_add_f32_e32 v26, v16, v15
	v_fmac_f32_e32 v30, -0.5, v14
	v_sub_f32_e32 v14, v46, v11
	v_fma_f32 v26, -0.5, v26, v32
	v_fmamk_f32 v23, v14, 0xbf5db3d7, v29
	v_fmac_f32_e32 v29, 0x3f5db3d7, v14
	v_sub_f32_e32 v14, v45, v9
	v_fmamk_f32 v24, v14, 0x3f5db3d7, v30
	v_fmac_f32_e32 v30, 0xbf5db3d7, v14
	v_add_f32_e32 v14, v12, v13
	v_fma_f32 v25, -0.5, v14, v31
	v_sub_f32_e32 v14, v16, v15
	v_fmamk_f32 v39, v14, 0xbf5db3d7, v25
	v_fmac_f32_e32 v25, 0x3f5db3d7, v14
	v_sub_f32_e32 v14, v12, v13
	v_add_f32_e32 v12, v37, v54
	v_fmamk_f32 v40, v14, 0x3f5db3d7, v26
	v_fmac_f32_e32 v26, 0xbf5db3d7, v14
	v_add_nc_u32_e32 v14, 0x4400, v229
	ds_write2_b64 v14, v[29:30], v[25:26] offset0:74 offset1:164
	ds_write2_b64 v197, v[0:1], v[2:3] offset0:52 offset1:142
	;; [unrolled: 1-line block ×3, first 2 shown]
	v_add_f32_e32 v1, v10, v6
	v_add_f32_e32 v3, v62, v11
	;; [unrolled: 1-line block ×11, first 2 shown]
	v_fma_f32 v37, -0.5, v10, v37
	v_sub_f32_e32 v14, v55, v57
	v_fmac_f32_e32 v38, -0.5, v11
	v_sub_f32_e32 v15, v54, v56
	v_add_f32_e32 v6, v43, v17
	v_add_f32_e32 v7, v44, v49
	;; [unrolled: 1-line block ×6, first 2 shown]
	v_fmamk_f32 v12, v14, 0xbf5db3d7, v37
	v_fmac_f32_e32 v37, 0x3f5db3d7, v14
	v_fmamk_f32 v13, v15, 0x3f5db3d7, v38
	v_fmac_f32_e32 v38, 0xbf5db3d7, v15
	ds_write2_b64 v255, v[0:1], v[2:3] offset0:104 offset1:194
	ds_write2_b64 v225, v[23:24], v[39:40] offset0:70 offset1:160
	;; [unrolled: 1-line block ×4, first 2 shown]
	ds_write_b64 v229, v[37:38] offset:20880
	ds_write_b64 v229, v[12:13] offset:13680
	s_waitcnt lgkmcnt(0)
	s_barrier
	buffer_gl0_inv
	ds_read2_b64 v[0:3], v229 offset1:90
	ds_read2_b64 v[4:7], v199 offset0:132 offset1:222
	s_clause 0x1
	buffer_load_dword v15, off, s[20:23], 0 offset:240
	buffer_load_dword v16, off, s[20:23], 0 offset:244
	ds_read2_b64 v[8:11], v189 offset0:8 offset1:98
	s_clause 0x1
	buffer_load_dword v13, off, s[20:23], 0 offset:232
	buffer_load_dword v14, off, s[20:23], 0 offset:236
	s_waitcnt vmcnt(2) lgkmcnt(2)
	v_mul_f32_e32 v20, v16, v1
	v_mul_f32_e32 v12, v16, v0
	s_waitcnt vmcnt(0)
	v_mul_f32_e32 v24, v14, v3
	v_mov_b32_e32 v26, v14
	v_mov_b32_e32 v25, v13
	v_fmac_f32_e32 v20, v15, v0
	v_fma_f32 v21, v15, v1, -v12
	v_fmac_f32_e32 v24, v13, v2
	ds_read2_b64 v[12:15], v197 offset0:52 offset1:142
	s_clause 0x1
	buffer_load_dword v16, off, s[20:23], 0 offset:216
	buffer_load_dword v17, off, s[20:23], 0 offset:220
	v_mul_f32_e32 v0, v26, v2
	v_fma_f32 v25, v25, v3, -v0
	s_waitcnt vmcnt(0) lgkmcnt(2)
	v_mul_f32_e32 v22, v17, v5
	v_mul_f32_e32 v1, v17, v4
	v_mov_b32_e32 v23, v16
	s_clause 0x1
	buffer_load_dword v16, off, s[20:23], 0 offset:224
	buffer_load_dword v17, off, s[20:23], 0 offset:228
	v_fmac_f32_e32 v22, v23, v4
	v_fma_f32 v23, v23, v5, -v1
	s_waitcnt vmcnt(0)
	v_mul_f32_e32 v27, v17, v7
	v_mul_f32_e32 v2, v17, v6
	v_mov_b32_e32 v26, v16
	ds_read2_b64 v[16:19], v191 offset0:56 offset1:146
	s_clause 0x1
	buffer_load_dword v0, off, s[20:23], 0 offset:176
	buffer_load_dword v1, off, s[20:23], 0 offset:180
	v_fmac_f32_e32 v27, v26, v6
	v_fma_f32 v28, v26, v7, -v2
	s_waitcnt vmcnt(0) lgkmcnt(2)
	v_mul_f32_e32 v26, v1, v9
	v_mul_f32_e32 v4, v1, v8
	v_mov_b32_e32 v6, v0
	s_clause 0x1
	buffer_load_dword v0, off, s[20:23], 0 offset:208
	buffer_load_dword v1, off, s[20:23], 0 offset:212
	v_fmac_f32_e32 v26, v6, v8
	v_fma_f32 v30, v6, v9, -v4
	s_waitcnt vmcnt(0)
	v_mul_f32_e32 v29, v1, v11
	v_mul_f32_e32 v5, v1, v10
	v_mov_b32_e32 v7, v0
	ds_read2_b64 v[0:3], v178 offset0:60 offset1:150
	s_clause 0x1
	buffer_load_dword v8, off, s[20:23], 0 offset:184
	buffer_load_dword v9, off, s[20:23], 0 offset:188
	v_fmac_f32_e32 v29, v7, v10
	v_fma_f32 v32, v7, v11, -v5
	s_waitcnt vmcnt(0) lgkmcnt(2)
	v_mul_f32_e32 v31, v9, v13
	v_mul_f32_e32 v4, v9, v12
	s_clause 0x3
	buffer_load_dword v9, off, s[20:23], 0 offset:192
	buffer_load_dword v10, off, s[20:23], 0 offset:196
	;; [unrolled: 1-line block ×4, first 2 shown]
	v_fmac_f32_e32 v31, v8, v12
	v_fma_f32 v35, v8, v13, -v4
	s_waitcnt vmcnt(2)
	v_mul_f32_e32 v5, v10, v14
	v_mul_f32_e32 v33, v10, v15
	s_waitcnt vmcnt(0) lgkmcnt(1)
	v_mul_f32_e32 v34, v7, v17
	v_mul_f32_e32 v8, v7, v16
	v_mov_b32_e32 v10, v6
	v_fma_f32 v36, v9, v15, -v5
	s_clause 0x1
	buffer_load_dword v4, off, s[20:23], 0 offset:200
	buffer_load_dword v5, off, s[20:23], 0 offset:204
	v_fmac_f32_e32 v33, v9, v14
	v_fmac_f32_e32 v34, v6, v16
	v_fma_f32 v38, v10, v17, -v8
	v_cvt_f64_f32_e32 v[14:15], v22
	v_cvt_f64_f32_e32 v[16:17], v23
	s_waitcnt vmcnt(0)
	v_mul_f32_e32 v9, v5, v18
	v_mov_b32_e32 v12, v4
	v_mul_f32_e32 v37, v5, v19
	ds_read2_b64 v[4:7], v255 offset0:104 offset1:194
	s_clause 0x1
	buffer_load_dword v10, off, s[20:23], 0 offset:160
	buffer_load_dword v11, off, s[20:23], 0 offset:164
	v_fma_f32 v40, v12, v19, -v9
	s_clause 0x3
	buffer_load_dword v8, off, s[20:23], 0
	buffer_load_dword v9, off, s[20:23], 0 offset:4
	buffer_load_dword v44, off, s[20:23], 0 offset:152
	;; [unrolled: 1-line block ×3, first 2 shown]
	v_fmac_f32_e32 v37, v12, v18
	v_cvt_f64_f32_e32 v[12:13], v21
	s_waitcnt vmcnt(4) lgkmcnt(1)
	v_mul_f32_e32 v39, v11, v1
	v_mul_f32_e32 v18, v11, v0
	v_mov_b32_e32 v42, v10
	s_waitcnt vmcnt(3)
	v_mov_b32_e32 v19, v8
	s_waitcnt vmcnt(0)
	v_mul_f32_e32 v41, v45, v3
	v_fmac_f32_e32 v39, v10, v0
	v_mul_f32_e32 v43, v45, v2
	v_fma_f32 v42, v42, v1, -v18
	v_mad_u64_u32 v[8:9], null, s2, v19, 0
	v_fmac_f32_e32 v41, v44, v2
	v_cvt_f64_f32_e32 v[10:11], v20
	v_mov_b32_e32 v47, v44
	v_cvt_f64_f32_e32 v[20:21], v30
	v_mov_b32_e32 v0, v9
	v_fma_f32 v30, v47, v3, -v43
	v_mad_u64_u32 v[0:1], null, s3, v19, v[0:1]
	s_clause 0x4
	buffer_load_dword v1, off, s[20:23], 0 offset:136
	buffer_load_dword v2, off, s[20:23], 0 offset:140
	buffer_load_dword v22, off, s[20:23], 0 offset:248
	buffer_load_dword v49, off, s[20:23], 0 offset:144
	buffer_load_dword v50, off, s[20:23], 0 offset:148
	v_cvt_f64_f32_e32 v[18:19], v26
	s_mov_b32 s2, 0xa0ce5129
	s_mov_b32 s3, 0x3f3845c8
	v_mov_b32_e32 v9, v0
	v_mul_f64 v[12:13], v[12:13], s[2:3]
	v_mul_f64 v[14:15], v[14:15], s[2:3]
	;; [unrolled: 1-line block ×4, first 2 shown]
	v_cvt_f64_f32_e32 v[25:26], v25
	s_waitcnt vmcnt(3) lgkmcnt(0)
	v_mul_f32_e32 v44, v2, v5
	v_mul_f32_e32 v45, v2, v4
	v_mov_b32_e32 v48, v1
	s_waitcnt vmcnt(2)
	v_mad_u64_u32 v[1:2], null, s0, v22, 0
	s_waitcnt vmcnt(0)
	v_mul_f32_e32 v46, v50, v7
	v_fmac_f32_e32 v44, v48, v4
	v_fma_f32 v43, v48, v5, -v45
	v_mov_b32_e32 v47, v49
	v_mov_b32_e32 v48, v50
	;; [unrolled: 1-line block ×3, first 2 shown]
	v_lshlrev_b64 v[3:4], 3, v[8:9]
	v_mul_f64 v[8:9], v[20:21], s[2:3]
	v_fmac_f32_e32 v46, v47, v6
	v_mul_f32_e32 v45, v48, v6
	v_mad_u64_u32 v[22:23], null, s1, v22, v[0:1]
	v_cvt_f64_f32_e32 v[23:24], v24
	v_mul_f64 v[5:6], v[18:19], s[2:3]
	v_mov_b32_e32 v48, v47
	v_add_co_u32 v47, vcc_lo, s4, v3
	v_cvt_f32_f64_e32 v3, v[12:13]
	v_mov_b32_e32 v2, v22
	v_cvt_f64_f32_e32 v[18:19], v28
	v_cvt_f64_f32_e32 v[20:21], v29
	v_add_co_ci_u32_e32 v4, vcc_lo, s5, v4, vcc_lo
	v_lshlrev_b64 v[0:1], 3, v[1:2]
	v_cvt_f32_f64_e32 v2, v[10:11]
	v_cvt_f32_f64_e32 v10, v[14:15]
	;; [unrolled: 1-line block ×3, first 2 shown]
	v_mul_f64 v[14:15], v[25:26], s[2:3]
	v_cvt_f64_f32_e32 v[16:17], v27
	v_add_co_u32 v0, vcc_lo, v47, v0
	s_mul_i32 s4, s1, 0x1c20
	s_mul_hi_u32 s5, s0, 0x1c20
	v_add_co_ci_u32_e32 v1, vcc_lo, v4, v1, vcc_lo
	v_mul_f64 v[12:13], v[23:24], s[2:3]
	v_cvt_f64_f32_e32 v[22:23], v32
	v_cvt_f32_f64_e32 v4, v[5:6]
	v_cvt_f32_f64_e32 v5, v[8:9]
	v_cvt_f64_f32_e32 v[8:9], v31
	v_cvt_f64_f32_e32 v[24:25], v35
	v_fma_f32 v35, v48, v7, -v45
	v_cvt_f64_f32_e32 v[6:7], v34
	v_cvt_f64_f32_e32 v[28:29], v38
	s_add_i32 s4, s5, s4
	s_mul_i32 s5, s0, 0x1c20
	s_mulk_i32 s1, 0xca90
	v_add_co_u32 v26, vcc_lo, v0, s5
	v_add_co_ci_u32_e32 v27, vcc_lo, s4, v1, vcc_lo
	global_store_dwordx2 v[0:1], v[2:3], off
	global_store_dwordx2 v[26:27], v[10:11], off
	v_cvt_f32_f64_e32 v1, v[14:15]
	v_mul_f64 v[2:3], v[16:17], s[2:3]
	v_mul_f64 v[10:11], v[18:19], s[2:3]
	v_cvt_f32_f64_e32 v0, v[12:13]
	v_mul_f64 v[12:13], v[20:21], s[2:3]
	v_mul_f64 v[14:15], v[22:23], s[2:3]
	v_add_co_u32 v16, vcc_lo, v26, s5
	v_add_co_ci_u32_e32 v17, vcc_lo, s4, v27, vcc_lo
	v_mul_f64 v[8:9], v[8:9], s[2:3]
	v_mul_f64 v[18:19], v[24:25], s[2:3]
	s_mulk_i32 s0, 0xca90
	global_store_dwordx2 v[16:17], v[4:5], off
	v_mul_f64 v[4:5], v[6:7], s[2:3]
	v_mul_f64 v[6:7], v[28:29], s[2:3]
	s_add_i32 s1, s6, s1
	v_add_co_u32 v16, vcc_lo, v16, s0
	v_add_co_ci_u32_e32 v17, vcc_lo, s1, v17, vcc_lo
	v_cvt_f64_f32_e32 v[22:23], v42
	v_cvt_f64_f32_e32 v[26:27], v44
	v_cvt_f32_f64_e32 v2, v[2:3]
	v_cvt_f32_f64_e32 v3, v[10:11]
	global_store_dwordx2 v[16:17], v[0:1], off
	v_cvt_f32_f64_e32 v10, v[12:13]
	v_cvt_f32_f64_e32 v11, v[14:15]
	v_add_co_u32 v0, vcc_lo, v16, s5
	v_add_co_ci_u32_e32 v1, vcc_lo, s4, v17, vcc_lo
	v_cvt_f32_f64_e32 v8, v[8:9]
	v_cvt_f32_f64_e32 v9, v[18:19]
	v_add_co_u32 v14, vcc_lo, v0, s5
	v_cvt_f32_f64_e32 v4, v[4:5]
	v_cvt_f32_f64_e32 v5, v[6:7]
	v_add_co_ci_u32_e32 v15, vcc_lo, s4, v1, vcc_lo
	v_cvt_f64_f32_e32 v[18:19], v40
	v_cvt_f64_f32_e32 v[6:7], v37
	;; [unrolled: 1-line block ×3, first 2 shown]
	v_mul_f64 v[22:23], v[22:23], s[2:3]
	v_cvt_f64_f32_e32 v[20:21], v39
	v_cvt_f64_f32_e32 v[16:17], v36
	global_store_dwordx2 v[0:1], v[2:3], off
	ds_read2_b64 v[0:3], v179 offset0:108 offset1:198
	v_cvt_f64_f32_e32 v[24:25], v41
	global_store_dwordx2 v[14:15], v[10:11], off
	v_add_co_u32 v14, vcc_lo, v14, s0
	v_add_co_ci_u32_e32 v15, vcc_lo, s1, v15, vcc_lo
	v_cvt_f64_f32_e32 v[10:11], v30
	v_add_co_u32 v30, vcc_lo, v14, s5
	v_add_co_ci_u32_e32 v31, vcc_lo, s4, v15, vcc_lo
	global_store_dwordx2 v[14:15], v[8:9], off
	v_cvt_f64_f32_e32 v[28:29], v43
	global_store_dwordx2 v[30:31], v[4:5], off
	s_clause 0x1
	buffer_load_dword v4, off, s[20:23], 0 offset:128
	buffer_load_dword v5, off, s[20:23], 0 offset:132
	v_mul_f64 v[14:15], v[18:19], s[2:3]
	v_cvt_f32_f64_e32 v19, v[22:23]
	v_mul_f64 v[22:23], v[26:27], s[2:3]
	v_add_co_u32 v26, vcc_lo, v30, s5
	v_mul_f64 v[8:9], v[6:7], s[2:3]
	v_add_co_ci_u32_e32 v27, vcc_lo, s4, v31, vcc_lo
	v_mul_f64 v[20:21], v[20:21], s[2:3]
	v_mul_f64 v[12:13], v[12:13], s[2:3]
	;; [unrolled: 1-line block ×4, first 2 shown]
	v_cvt_f32_f64_e32 v8, v[8:9]
	v_cvt_f32_f64_e32 v9, v[14:15]
	v_add_co_u32 v14, vcc_lo, v26, s0
	v_cvt_f32_f64_e32 v18, v[20:21]
	v_mul_f64 v[20:21], v[24:25], s[2:3]
	v_mul_f64 v[24:25], v[28:29], s[2:3]
	v_cvt_f32_f64_e32 v12, v[12:13]
	v_cvt_f32_f64_e32 v13, v[16:17]
	v_add_co_ci_u32_e32 v15, vcc_lo, s1, v27, vcc_lo
	v_cvt_f32_f64_e32 v20, v[20:21]
	v_cvt_f32_f64_e32 v21, v[10:11]
	;; [unrolled: 1-line block ×4, first 2 shown]
	v_add_co_u32 v22, vcc_lo, v14, s5
	v_add_co_ci_u32_e32 v23, vcc_lo, s4, v15, vcc_lo
	v_add_co_u32 v42, vcc_lo, v22, s5
	v_add_co_ci_u32_e32 v43, vcc_lo, s4, v23, vcc_lo
	s_waitcnt vmcnt(0) lgkmcnt(0)
	v_mul_f32_e32 v32, v5, v1
	v_mul_f32_e32 v33, v5, v0
	v_mov_b32_e32 v34, v4
	ds_read2_b64 v[4:7], v224 offset0:112 offset1:202
	s_clause 0x1
	buffer_load_dword v30, off, s[20:23], 0 offset:104
	buffer_load_dword v31, off, s[20:23], 0 offset:108
	v_fma_f32 v28, v34, v1, -v33
	v_fmac_f32_e32 v32, v34, v0
	v_cvt_f64_f32_e32 v[34:35], v35
	v_cvt_f64_f32_e32 v[16:17], v28
	;; [unrolled: 1-line block ×4, first 2 shown]
	v_add_co_u32 v46, vcc_lo, v42, s0
	v_add_co_ci_u32_e32 v47, vcc_lo, s1, v43, vcc_lo
	v_mul_f64 v[16:17], v[16:17], s[2:3]
	v_mul_f64 v[24:25], v[0:1], s[2:3]
	s_waitcnt vmcnt(0) lgkmcnt(0)
	v_mul_f32_e32 v28, v31, v5
	v_mul_f32_e32 v29, v31, v4
	v_fmac_f32_e32 v28, v30, v4
	v_fma_f32 v4, v30, v5, -v29
	s_clause 0x3
	buffer_load_dword v30, off, s[20:23], 0 offset:112
	buffer_load_dword v31, off, s[20:23], 0 offset:116
	buffer_load_dword v36, off, s[20:23], 0 offset:120
	buffer_load_dword v37, off, s[20:23], 0 offset:124
	s_waitcnt vmcnt(2)
	v_mul_f32_e32 v5, v31, v3
	v_mul_f32_e32 v29, v31, v2
	s_waitcnt vmcnt(0)
	v_mul_f32_e32 v0, v37, v7
	v_fmac_f32_e32 v5, v30, v2
	v_fma_f32 v1, v30, v3, -v29
	v_mul_f32_e32 v2, v37, v6
	v_mov_b32_e32 v3, v36
	v_cvt_f64_f32_e32 v[30:31], v4
	v_fmac_f32_e32 v0, v36, v6
	v_cvt_f64_f32_e32 v[36:37], v5
	v_cvt_f64_f32_e32 v[38:39], v1
	v_fma_f32 v4, v3, v7, -v2
	v_cvt_f64_f32_e32 v[28:29], v28
	v_cvt_f64_f32_e32 v[40:41], v0
	ds_read2_b64 v[0:3], v205 offset0:28 offset1:118
	v_cvt_f64_f32_e32 v[44:45], v4
	ds_read2_b64 v[4:7], v225 offset0:160 offset1:250
	global_store_dwordx2 v[26:27], v[18:19], off
	global_store_dwordx2 v[14:15], v[12:13], off
	;; [unrolled: 1-line block ×5, first 2 shown]
	s_clause 0x1
	buffer_load_dword v9, off, s[20:23], 0 offset:96
	buffer_load_dword v10, off, s[20:23], 0 offset:100
	v_mul_f64 v[18:19], v[32:33], s[2:3]
	v_mul_f64 v[20:21], v[34:35], s[2:3]
	s_clause 0x1
	buffer_load_dword v33, off, s[20:23], 0 offset:88
	buffer_load_dword v34, off, s[20:23], 0 offset:92
	v_cvt_f32_f64_e32 v13, v[16:17]
	v_cvt_f32_f64_e32 v12, v[24:25]
	v_mul_f64 v[16:17], v[30:31], s[2:3]
	v_mul_f64 v[22:23], v[36:37], s[2:3]
	;; [unrolled: 1-line block ×6, first 2 shown]
	v_cvt_f32_f64_e32 v18, v[18:19]
	v_cvt_f32_f64_e32 v19, v[20:21]
	;; [unrolled: 1-line block ×8, first 2 shown]
	s_waitcnt vmcnt(2) lgkmcnt(1)
	v_mul_f32_e32 v8, v10, v1
	s_waitcnt vmcnt(0) lgkmcnt(0)
	v_mul_f32_e32 v32, v34, v5
	v_fmac_f32_e32 v8, v9, v0
	v_mul_f32_e32 v0, v10, v0
	v_mov_b32_e32 v10, v9
	v_mul_f32_e32 v9, v34, v4
	v_fmac_f32_e32 v32, v33, v4
	v_cvt_f64_f32_e32 v[30:31], v8
	v_fma_f32 v8, v10, v1, -v0
	v_fma_f32 v34, v33, v5, -v9
	v_add_co_u32 v0, vcc_lo, v46, s5
	v_add_co_ci_u32_e32 v1, vcc_lo, s4, v47, vcc_lo
	v_cvt_f64_f32_e32 v[4:5], v8
	ds_read2_b64 v[8:11], v226 offset0:36 offset1:126
	s_clause 0x1
	buffer_load_dword v38, off, s[20:23], 0 offset:80
	buffer_load_dword v39, off, s[20:23], 0 offset:84
	v_cvt_f64_f32_e32 v[34:35], v34
	v_add_co_u32 v16, vcc_lo, v0, s5
	v_add_co_ci_u32_e32 v17, vcc_lo, s4, v1, vcc_lo
	v_cvt_f64_f32_e32 v[32:33], v32
	v_add_co_u32 v20, vcc_lo, v16, s0
	v_add_co_ci_u32_e32 v21, vcc_lo, s1, v17, vcc_lo
	v_mul_f64 v[26:27], v[30:31], s[2:3]
	v_mul_f64 v[4:5], v[4:5], s[2:3]
	;; [unrolled: 1-line block ×4, first 2 shown]
	s_waitcnt vmcnt(0) lgkmcnt(0)
	v_mul_f32_e32 v36, v39, v9
	v_mul_f32_e32 v37, v39, v8
	s_clause 0x1
	buffer_load_dword v39, off, s[20:23], 0 offset:72
	buffer_load_dword v40, off, s[20:23], 0 offset:76
	v_fmac_f32_e32 v36, v38, v8
	v_fma_f32 v34, v38, v9, -v37
	v_add_co_u32 v8, vcc_lo, v20, s5
	v_add_co_ci_u32_e32 v9, vcc_lo, s4, v21, vcc_lo
	v_cvt_f64_f32_e32 v[32:33], v36
	v_cvt_f64_f32_e32 v[34:35], v34
	s_waitcnt vmcnt(0)
	v_mul_f32_e32 v37, v40, v3
	v_mul_f32_e32 v38, v40, v2
	v_fmac_f32_e32 v37, v39, v2
	v_add_co_u32 v2, vcc_lo, v8, s5
	v_fma_f32 v38, v39, v3, -v38
	v_add_co_ci_u32_e32 v3, vcc_lo, s4, v9, vcc_lo
	global_store_dwordx2 v[0:1], v[12:13], off
	global_store_dwordx2 v[16:17], v[14:15], off
	;; [unrolled: 1-line block ×5, first 2 shown]
	s_clause 0x1
	buffer_load_dword v0, off, s[20:23], 0 offset:64
	buffer_load_dword v1, off, s[20:23], 0 offset:68
	v_cvt_f32_f64_e32 v9, v[4:5]
	v_cvt_f32_f64_e32 v4, v[28:29]
	;; [unrolled: 1-line block ×4, first 2 shown]
	v_add_co_u32 v12, vcc_lo, v2, s0
	v_add_co_ci_u32_e32 v13, vcc_lo, s1, v3, vcc_lo
	v_mul_f64 v[14:15], v[32:33], s[2:3]
	v_add_co_u32 v18, vcc_lo, v12, s5
	v_add_co_ci_u32_e32 v19, vcc_lo, s4, v13, vcc_lo
	v_cvt_f64_f32_e32 v[36:37], v37
	v_cvt_f64_f32_e32 v[38:39], v38
	v_mul_f64 v[16:17], v[34:35], s[2:3]
	v_cvt_f32_f64_e32 v14, v[14:15]
	v_mul_f64 v[20:21], v[36:37], s[2:3]
	v_mul_f64 v[22:23], v[38:39], s[2:3]
	v_cvt_f32_f64_e32 v15, v[16:17]
	v_add_co_u32 v16, vcc_lo, v18, s5
	v_add_co_ci_u32_e32 v17, vcc_lo, s4, v19, vcc_lo
	s_waitcnt vmcnt(0)
	v_mul_f32_e32 v24, v1, v7
	v_mov_b32_e32 v28, v0
	v_fmac_f32_e32 v24, v0, v6
	v_mul_f32_e32 v6, v1, v6
	s_clause 0x1
	buffer_load_dword v0, off, s[20:23], 0 offset:56
	buffer_load_dword v1, off, s[20:23], 0 offset:60
	v_cvt_f64_f32_e32 v[24:25], v24
	v_fma_f32 v6, v28, v7, -v6
	s_waitcnt vmcnt(0)
	v_mul_f32_e32 v27, v1, v10
	v_mov_b32_e32 v29, v0
	v_mul_f32_e32 v26, v1, v11
	ds_read2_b64 v[0:3], v63 offset0:80 offset1:170
	global_store_dwordx2 v[12:13], v[8:9], off
	global_store_dwordx2 v[18:19], v[4:5], off
	v_cvt_f64_f32_e32 v[12:13], v6
	v_fma_f32 v7, v29, v11, -v27
	v_fmac_f32_e32 v26, v29, v10
	v_cvt_f32_f64_e32 v19, v[22:23]
	v_mul_f64 v[22:23], v[24:25], s[2:3]
	v_cvt_f32_f64_e32 v18, v[20:21]
	v_cvt_f64_f32_e32 v[28:29], v7
	ds_read2_b64 v[4:7], v201 offset0:84 offset1:174
	ds_read2_b64 v[8:11], v203 offset0:88 offset1:178
	s_clause 0x1
	buffer_load_dword v32, off, s[20:23], 0 offset:48
	buffer_load_dword v33, off, s[20:23], 0 offset:52
	v_cvt_f64_f32_e32 v[26:27], v26
	v_add_co_u32 v20, vcc_lo, v16, s0
	v_add_co_ci_u32_e32 v21, vcc_lo, s1, v17, vcc_lo
	v_mul_f64 v[24:25], v[28:29], s[2:3]
	s_waitcnt vmcnt(0) lgkmcnt(2)
	v_mul_f32_e32 v30, v33, v1
	v_mul_f32_e32 v31, v33, v0
	v_fmac_f32_e32 v30, v32, v0
	v_fma_f32 v31, v32, v1, -v31
	s_clause 0x3
	buffer_load_dword v32, off, s[20:23], 0 offset:40
	buffer_load_dword v33, off, s[20:23], 0 offset:44
	;; [unrolled: 1-line block ×4, first 2 shown]
	v_mul_f64 v[0:1], v[12:13], s[2:3]
	v_mul_f64 v[12:13], v[26:27], s[2:3]
	v_cvt_f64_f32_e32 v[26:27], v30
	v_cvt_f64_f32_e32 v[28:29], v31
	v_cvt_f32_f64_e32 v12, v[12:13]
	v_cvt_f32_f64_e32 v13, v[24:25]
	s_waitcnt vmcnt(2) lgkmcnt(1)
	v_mul_f32_e32 v30, v33, v5
	v_mul_f32_e32 v31, v33, v4
	v_mov_b32_e32 v35, v32
	s_waitcnt vmcnt(0) lgkmcnt(0)
	v_mul_f32_e32 v32, v37, v9
	v_mul_f32_e32 v33, v37, v8
	v_mov_b32_e32 v38, v36
	s_clause 0x1
	buffer_load_dword v36, off, s[20:23], 0 offset:24
	buffer_load_dword v37, off, s[20:23], 0 offset:28
	v_fmac_f32_e32 v30, v35, v4
	v_fma_f32 v31, v35, v5, -v31
	v_fmac_f32_e32 v32, v38, v8
	v_fma_f32 v33, v38, v9, -v33
	s_clause 0x3
	buffer_load_dword v38, off, s[20:23], 0 offset:16
	buffer_load_dword v39, off, s[20:23], 0 offset:20
	;; [unrolled: 1-line block ×4, first 2 shown]
	v_cvt_f64_f32_e32 v[4:5], v30
	v_cvt_f64_f32_e32 v[8:9], v31
	v_cvt_f64_f32_e32 v[30:31], v32
	v_cvt_f64_f32_e32 v[32:33], v33
	global_store_dwordx2 v[16:17], v[14:15], off
	global_store_dwordx2 v[20:21], v[18:19], off
	v_cvt_f32_f64_e32 v15, v[0:1]
	v_mul_f64 v[0:1], v[26:27], s[2:3]
	v_mul_f64 v[16:17], v[28:29], s[2:3]
	v_add_co_u32 v18, vcc_lo, v20, s5
	v_cvt_f32_f64_e32 v14, v[22:23]
	v_add_co_ci_u32_e32 v19, vcc_lo, s4, v21, vcc_lo
	v_mul_f64 v[4:5], v[4:5], s[2:3]
	v_mul_f64 v[8:9], v[8:9], s[2:3]
	;; [unrolled: 1-line block ×4, first 2 shown]
	v_add_co_u32 v30, vcc_lo, v18, s5
	v_add_co_ci_u32_e32 v31, vcc_lo, s4, v19, vcc_lo
	v_cvt_f32_f64_e32 v0, v[0:1]
	v_cvt_f32_f64_e32 v1, v[16:17]
	v_add_co_u32 v16, vcc_lo, v30, s0
	v_add_co_ci_u32_e32 v17, vcc_lo, s1, v31, vcc_lo
	global_store_dwordx2 v[18:19], v[14:15], off
	global_store_dwordx2 v[30:31], v[12:13], off
	v_cvt_f32_f64_e32 v4, v[4:5]
	v_cvt_f32_f64_e32 v5, v[8:9]
	v_add_co_u32 v8, vcc_lo, v16, s5
	v_add_co_ci_u32_e32 v9, vcc_lo, s4, v17, vcc_lo
	v_cvt_f32_f64_e32 v20, v[20:21]
	v_cvt_f32_f64_e32 v21, v[22:23]
	global_store_dwordx2 v[16:17], v[0:1], off
	s_waitcnt vmcnt(4)
	v_mul_f32_e32 v34, v37, v3
	v_mov_b32_e32 v40, v36
	v_fmac_f32_e32 v34, v36, v2
	v_mul_f32_e32 v2, v37, v2
	s_waitcnt vmcnt(2)
	v_mul_f32_e32 v36, v39, v7
	v_mul_f32_e32 v37, v39, v6
	v_mov_b32_e32 v41, v38
	s_waitcnt vmcnt(0)
	v_mul_f32_e32 v38, v43, v11
	v_mul_f32_e32 v39, v43, v10
	v_fma_f32 v2, v40, v3, -v2
	v_cvt_f64_f32_e32 v[34:35], v34
	v_fmac_f32_e32 v36, v41, v6
	v_fma_f32 v37, v41, v7, -v37
	v_fmac_f32_e32 v38, v42, v10
	v_fma_f32 v39, v42, v11, -v39
	v_cvt_f64_f32_e32 v[2:3], v2
	v_cvt_f64_f32_e32 v[6:7], v36
	;; [unrolled: 1-line block ×5, first 2 shown]
	v_mul_f64 v[24:25], v[34:35], s[2:3]
	v_mul_f64 v[2:3], v[2:3], s[2:3]
	;; [unrolled: 1-line block ×6, first 2 shown]
	v_cvt_f32_f64_e32 v22, v[24:25]
	v_cvt_f32_f64_e32 v23, v[2:3]
	v_cvt_f32_f64_e32 v2, v[6:7]
	v_cvt_f32_f64_e32 v3, v[10:11]
	v_cvt_f32_f64_e32 v6, v[26:27]
	v_cvt_f32_f64_e32 v7, v[28:29]
	v_add_co_u32 v10, vcc_lo, v8, s5
	v_add_co_ci_u32_e32 v11, vcc_lo, s4, v9, vcc_lo
	v_add_co_u32 v14, vcc_lo, v10, s0
	v_add_co_ci_u32_e32 v15, vcc_lo, s1, v11, vcc_lo
	;; [unrolled: 2-line block ×4, first 2 shown]
	global_store_dwordx2 v[8:9], v[4:5], off
	global_store_dwordx2 v[10:11], v[20:21], off
	;; [unrolled: 1-line block ×5, first 2 shown]
.LBB0_2:
	s_endpgm
	.section	.rodata,"a",@progbits
	.p2align	6, 0x0
	.amdhsa_kernel bluestein_single_fwd_len2700_dim1_sp_op_CI_CI
		.amdhsa_group_segment_fixed_size 21600
		.amdhsa_private_segment_fixed_size 492
		.amdhsa_kernarg_size 104
		.amdhsa_user_sgpr_count 6
		.amdhsa_user_sgpr_private_segment_buffer 1
		.amdhsa_user_sgpr_dispatch_ptr 0
		.amdhsa_user_sgpr_queue_ptr 0
		.amdhsa_user_sgpr_kernarg_segment_ptr 1
		.amdhsa_user_sgpr_dispatch_id 0
		.amdhsa_user_sgpr_flat_scratch_init 0
		.amdhsa_user_sgpr_private_segment_size 0
		.amdhsa_wavefront_size32 1
		.amdhsa_uses_dynamic_stack 0
		.amdhsa_system_sgpr_private_segment_wavefront_offset 1
		.amdhsa_system_sgpr_workgroup_id_x 1
		.amdhsa_system_sgpr_workgroup_id_y 0
		.amdhsa_system_sgpr_workgroup_id_z 0
		.amdhsa_system_sgpr_workgroup_info 0
		.amdhsa_system_vgpr_workitem_id 0
		.amdhsa_next_free_vgpr 256
		.amdhsa_next_free_sgpr 24
		.amdhsa_reserve_vcc 1
		.amdhsa_reserve_flat_scratch 0
		.amdhsa_float_round_mode_32 0
		.amdhsa_float_round_mode_16_64 0
		.amdhsa_float_denorm_mode_32 3
		.amdhsa_float_denorm_mode_16_64 3
		.amdhsa_dx10_clamp 1
		.amdhsa_ieee_mode 1
		.amdhsa_fp16_overflow 0
		.amdhsa_workgroup_processor_mode 1
		.amdhsa_memory_ordered 1
		.amdhsa_forward_progress 0
		.amdhsa_shared_vgpr_count 0
		.amdhsa_exception_fp_ieee_invalid_op 0
		.amdhsa_exception_fp_denorm_src 0
		.amdhsa_exception_fp_ieee_div_zero 0
		.amdhsa_exception_fp_ieee_overflow 0
		.amdhsa_exception_fp_ieee_underflow 0
		.amdhsa_exception_fp_ieee_inexact 0
		.amdhsa_exception_int_div_zero 0
	.end_amdhsa_kernel
	.text
.Lfunc_end0:
	.size	bluestein_single_fwd_len2700_dim1_sp_op_CI_CI, .Lfunc_end0-bluestein_single_fwd_len2700_dim1_sp_op_CI_CI
                                        ; -- End function
	.section	.AMDGPU.csdata,"",@progbits
; Kernel info:
; codeLenInByte = 33404
; NumSgprs: 26
; NumVgprs: 256
; ScratchSize: 492
; MemoryBound: 0
; FloatMode: 240
; IeeeMode: 1
; LDSByteSize: 21600 bytes/workgroup (compile time only)
; SGPRBlocks: 3
; VGPRBlocks: 31
; NumSGPRsForWavesPerEU: 26
; NumVGPRsForWavesPerEU: 256
; Occupancy: 4
; WaveLimiterHint : 1
; COMPUTE_PGM_RSRC2:SCRATCH_EN: 1
; COMPUTE_PGM_RSRC2:USER_SGPR: 6
; COMPUTE_PGM_RSRC2:TRAP_HANDLER: 0
; COMPUTE_PGM_RSRC2:TGID_X_EN: 1
; COMPUTE_PGM_RSRC2:TGID_Y_EN: 0
; COMPUTE_PGM_RSRC2:TGID_Z_EN: 0
; COMPUTE_PGM_RSRC2:TIDIG_COMP_CNT: 0
	.text
	.p2alignl 6, 3214868480
	.fill 48, 4, 3214868480
	.type	__hip_cuid_974b81d6cc2d9fd8,@object ; @__hip_cuid_974b81d6cc2d9fd8
	.section	.bss,"aw",@nobits
	.globl	__hip_cuid_974b81d6cc2d9fd8
__hip_cuid_974b81d6cc2d9fd8:
	.byte	0                               ; 0x0
	.size	__hip_cuid_974b81d6cc2d9fd8, 1

	.ident	"AMD clang version 19.0.0git (https://github.com/RadeonOpenCompute/llvm-project roc-6.4.0 25133 c7fe45cf4b819c5991fe208aaa96edf142730f1d)"
	.section	".note.GNU-stack","",@progbits
	.addrsig
	.addrsig_sym __hip_cuid_974b81d6cc2d9fd8
	.amdgpu_metadata
---
amdhsa.kernels:
  - .args:
      - .actual_access:  read_only
        .address_space:  global
        .offset:         0
        .size:           8
        .value_kind:     global_buffer
      - .actual_access:  read_only
        .address_space:  global
        .offset:         8
        .size:           8
        .value_kind:     global_buffer
      - .actual_access:  read_only
        .address_space:  global
        .offset:         16
        .size:           8
        .value_kind:     global_buffer
      - .actual_access:  read_only
        .address_space:  global
        .offset:         24
        .size:           8
        .value_kind:     global_buffer
      - .actual_access:  read_only
        .address_space:  global
        .offset:         32
        .size:           8
        .value_kind:     global_buffer
      - .offset:         40
        .size:           8
        .value_kind:     by_value
      - .address_space:  global
        .offset:         48
        .size:           8
        .value_kind:     global_buffer
      - .address_space:  global
        .offset:         56
        .size:           8
        .value_kind:     global_buffer
      - .address_space:  global
        .offset:         64
        .size:           8
        .value_kind:     global_buffer
      - .address_space:  global
        .offset:         72
        .size:           8
        .value_kind:     global_buffer
      - .offset:         80
        .size:           4
        .value_kind:     by_value
      - .address_space:  global
        .offset:         88
        .size:           8
        .value_kind:     global_buffer
      - .address_space:  global
        .offset:         96
        .size:           8
        .value_kind:     global_buffer
    .group_segment_fixed_size: 21600
    .kernarg_segment_align: 8
    .kernarg_segment_size: 104
    .language:       OpenCL C
    .language_version:
      - 2
      - 0
    .max_flat_workgroup_size: 90
    .name:           bluestein_single_fwd_len2700_dim1_sp_op_CI_CI
    .private_segment_fixed_size: 492
    .sgpr_count:     26
    .sgpr_spill_count: 0
    .symbol:         bluestein_single_fwd_len2700_dim1_sp_op_CI_CI.kd
    .uniform_work_group_size: 1
    .uses_dynamic_stack: false
    .vgpr_count:     256
    .vgpr_spill_count: 122
    .wavefront_size: 32
    .workgroup_processor_mode: 1
amdhsa.target:   amdgcn-amd-amdhsa--gfx1030
amdhsa.version:
  - 1
  - 2
...

	.end_amdgpu_metadata
